;; amdgpu-corpus repo=ROCm/rocFFT kind=compiled arch=gfx906 opt=O3
	.text
	.amdgcn_target "amdgcn-amd-amdhsa--gfx906"
	.amdhsa_code_object_version 6
	.protected	bluestein_single_fwd_len576_dim1_half_op_CI_CI ; -- Begin function bluestein_single_fwd_len576_dim1_half_op_CI_CI
	.globl	bluestein_single_fwd_len576_dim1_half_op_CI_CI
	.p2align	8
	.type	bluestein_single_fwd_len576_dim1_half_op_CI_CI,@function
bluestein_single_fwd_len576_dim1_half_op_CI_CI: ; @bluestein_single_fwd_len576_dim1_half_op_CI_CI
; %bb.0:
	s_load_dwordx4 s[0:3], s[4:5], 0x28
	v_mul_u32_u24_e32 v1, 0x2ab, v0
	v_add_u32_sdwa v12, s6, v1 dst_sel:DWORD dst_unused:UNUSED_PAD src0_sel:DWORD src1_sel:WORD_1
	v_mov_b32_e32 v13, 0
	s_waitcnt lgkmcnt(0)
	v_cmp_gt_u64_e32 vcc, s[0:1], v[12:13]
	s_and_saveexec_b64 s[0:1], vcc
	s_cbranch_execz .LBB0_15
; %bb.1:
	s_load_dwordx2 s[6:7], s[4:5], 0x0
	s_load_dwordx2 s[12:13], s[4:5], 0x38
	s_movk_i32 s0, 0x60
	v_mul_lo_u16_sdwa v1, v1, s0 dst_sel:DWORD dst_unused:UNUSED_PAD src0_sel:WORD_1 src1_sel:DWORD
	v_sub_u16_e32 v28, v0, v1
	v_cmp_gt_u16_e32 vcc, 36, v28
	v_lshlrev_b32_e32 v27, 2, v28
	s_and_saveexec_b64 s[8:9], vcc
	s_cbranch_execz .LBB0_3
; %bb.2:
	s_load_dwordx2 s[0:1], s[4:5], 0x18
	s_waitcnt lgkmcnt(0)
	s_load_dwordx4 s[16:19], s[0:1], 0x0
	s_waitcnt lgkmcnt(0)
	v_mad_u64_u32 v[0:1], s[0:1], s18, v12, 0
	v_mad_u64_u32 v[2:3], s[0:1], s16, v28, 0
	;; [unrolled: 1-line block ×4, first 2 shown]
	v_mov_b32_e32 v1, v4
	v_lshlrev_b64 v[0:1], 2, v[0:1]
	v_mov_b32_e32 v3, v5
	v_mov_b32_e32 v6, s3
	v_lshlrev_b64 v[2:3], 2, v[2:3]
	v_add_co_u32_e64 v0, s[0:1], s2, v0
	v_addc_co_u32_e64 v1, s[0:1], v6, v1, s[0:1]
	v_add_co_u32_e64 v0, s[0:1], v0, v2
	v_addc_co_u32_e64 v1, s[0:1], v1, v3, s[0:1]
	s_mul_i32 s0, s17, 0x90
	s_mul_hi_u32 s3, s16, 0x90
	s_add_i32 s3, s3, s0
	s_mul_i32 s2, s16, 0x90
	v_mov_b32_e32 v3, s3
	v_add_co_u32_e64 v2, s[0:1], s2, v0
	v_addc_co_u32_e64 v3, s[0:1], v1, v3, s[0:1]
	global_load_dword v4, v[0:1], off
	global_load_dword v5, v[2:3], off
	global_load_dword v6, v27, s[6:7]
	global_load_dword v7, v27, s[6:7] offset:144
	v_mov_b32_e32 v1, s3
	v_add_co_u32_e64 v0, s[0:1], s2, v2
	v_addc_co_u32_e64 v1, s[0:1], v3, v1, s[0:1]
	global_load_dword v2, v[0:1], off
	global_load_dword v3, v27, s[6:7] offset:288
	v_mov_b32_e32 v8, s3
	v_add_co_u32_e64 v0, s[0:1], s2, v0
	v_addc_co_u32_e64 v1, s[0:1], v1, v8, s[0:1]
	global_load_dword v8, v[0:1], off
	global_load_dword v9, v27, s[6:7] offset:432
	global_load_dword v10, v27, s[6:7] offset:576
	;; [unrolled: 1-line block ×6, first 2 shown]
	v_mov_b32_e32 v16, s3
	v_add_co_u32_e64 v0, s[0:1], s2, v0
	v_addc_co_u32_e64 v1, s[0:1], v1, v16, s[0:1]
	v_mov_b32_e32 v17, s3
	global_load_dword v16, v[0:1], off
	v_add_co_u32_e64 v0, s[0:1], s2, v0
	v_addc_co_u32_e64 v1, s[0:1], v1, v17, s[0:1]
	global_load_dword v17, v[0:1], off
	v_mov_b32_e32 v18, s3
	v_add_co_u32_e64 v0, s[0:1], s2, v0
	v_addc_co_u32_e64 v1, s[0:1], v1, v18, s[0:1]
	global_load_dword v18, v[0:1], off
	v_mov_b32_e32 v19, s3
	;; [unrolled: 4-line block ×4, first 2 shown]
	v_add_co_u32_e64 v0, s[0:1], s2, v0
	v_addc_co_u32_e64 v1, s[0:1], v1, v21, s[0:1]
	v_mov_b32_e32 v29, s3
	v_mov_b32_e32 v32, s3
	;; [unrolled: 1-line block ×3, first 2 shown]
	s_waitcnt vmcnt(17)
	v_lshrrev_b32_e32 v22, 16, v4
	s_waitcnt vmcnt(15)
	v_mul_f16_sdwa v23, v6, v4 dst_sel:DWORD dst_unused:UNUSED_PAD src0_sel:WORD_1 src1_sel:DWORD
	v_mul_f16_sdwa v24, v6, v22 dst_sel:DWORD dst_unused:UNUSED_PAD src0_sel:WORD_1 src1_sel:DWORD
	v_fma_f16 v22, v6, v22, -v23
	v_lshrrev_b32_e32 v23, 16, v5
	v_fma_f16 v4, v6, v4, v24
	s_waitcnt vmcnt(14)
	v_mul_f16_sdwa v6, v7, v23 dst_sel:DWORD dst_unused:UNUSED_PAD src0_sel:WORD_1 src1_sel:DWORD
	s_waitcnt vmcnt(13)
	v_lshrrev_b32_e32 v24, 16, v2
	v_mul_f16_sdwa v25, v7, v5 dst_sel:DWORD dst_unused:UNUSED_PAD src0_sel:WORD_1 src1_sel:DWORD
	v_fma_f16 v5, v7, v5, v6
	s_waitcnt vmcnt(12)
	v_mul_f16_sdwa v6, v3, v24 dst_sel:DWORD dst_unused:UNUSED_PAD src0_sel:WORD_1 src1_sel:DWORD
	v_fma_f16 v23, v7, v23, -v25
	v_mul_f16_sdwa v25, v3, v2 dst_sel:DWORD dst_unused:UNUSED_PAD src0_sel:WORD_1 src1_sel:DWORD
	v_fma_f16 v2, v3, v2, v6
	global_load_dword v6, v[0:1], off
	global_load_dword v21, v27, s[6:7] offset:1296
	v_pack_b32_f16 v5, v5, v23
	v_mov_b32_e32 v23, s3
	v_add_co_u32_e64 v0, s[0:1], s2, v0
	v_addc_co_u32_e64 v1, s[0:1], v1, v23, s[0:1]
	global_load_dword v23, v[0:1], off
	v_fma_f16 v7, v3, v24, -v25
	v_mov_b32_e32 v25, s3
	global_load_dword v26, v27, s[6:7] offset:1440
	global_load_dword v30, v27, s[6:7] offset:1584
	v_add_co_u32_e64 v0, s[0:1], s2, v0
	v_addc_co_u32_e64 v1, s[0:1], v1, v25, s[0:1]
	global_load_dword v25, v[0:1], off
	v_add_co_u32_e64 v0, s[0:1], s2, v0
	v_addc_co_u32_e64 v1, s[0:1], v1, v29, s[0:1]
	global_load_dword v29, v[0:1], off
	global_load_dword v31, v27, s[6:7] offset:1728
	v_add_co_u32_e64 v0, s[0:1], s2, v0
	v_addc_co_u32_e64 v1, s[0:1], v1, v32, s[0:1]
	global_load_dword v32, v[0:1], off
	global_load_dword v34, v27, s[6:7] offset:1872
	;; [unrolled: 4-line block ×4, first 2 shown]
	v_pack_b32_f16 v4, v4, v22
	s_waitcnt vmcnt(25)
	v_lshrrev_b32_e32 v22, 16, v8
	s_waitcnt vmcnt(24)
	v_mul_f16_sdwa v24, v9, v8 dst_sel:DWORD dst_unused:UNUSED_PAD src0_sel:WORD_1 src1_sel:DWORD
	v_mul_f16_sdwa v3, v9, v22 dst_sel:DWORD dst_unused:UNUSED_PAD src0_sel:WORD_1 src1_sel:DWORD
	s_waitcnt vmcnt(18)
	v_lshrrev_b32_e32 v1, 16, v16
	v_fma_f16 v0, v9, v22, -v24
	ds_write2_b32 v27, v4, v5 offset1:36
	v_fma_f16 v3, v9, v8, v3
	v_mul_f16_sdwa v4, v10, v1 dst_sel:DWORD dst_unused:UNUSED_PAD src0_sel:WORD_1 src1_sel:DWORD
	s_waitcnt vmcnt(17)
	v_lshrrev_b32_e32 v5, 16, v17
	v_mul_f16_sdwa v22, v10, v16 dst_sel:DWORD dst_unused:UNUSED_PAD src0_sel:WORD_1 src1_sel:DWORD
	v_pack_b32_f16 v2, v2, v7
	v_mul_f16_sdwa v7, v11, v17 dst_sel:DWORD dst_unused:UNUSED_PAD src0_sel:WORD_1 src1_sel:DWORD
	v_pack_b32_f16 v0, v3, v0
	v_fma_f16 v3, v10, v16, v4
	v_mul_f16_sdwa v4, v11, v5 dst_sel:DWORD dst_unused:UNUSED_PAD src0_sel:WORD_1 src1_sel:DWORD
	v_fma_f16 v1, v10, v1, -v22
	v_fma_f16 v5, v11, v5, -v7
	ds_write2_b32 v27, v2, v0 offset0:72 offset1:108
	v_fma_f16 v0, v11, v17, v4
	v_pack_b32_f16 v1, v3, v1
	v_pack_b32_f16 v0, v0, v5
	ds_write2_b32 v27, v1, v0 offset0:144 offset1:180
	s_waitcnt vmcnt(16)
	v_lshrrev_b32_e32 v0, 16, v18
	v_mul_f16_sdwa v1, v13, v0 dst_sel:DWORD dst_unused:UNUSED_PAD src0_sel:WORD_1 src1_sel:DWORD
	v_mul_f16_sdwa v2, v13, v18 dst_sel:DWORD dst_unused:UNUSED_PAD src0_sel:WORD_1 src1_sel:DWORD
	v_fma_f16 v1, v13, v18, v1
	v_fma_f16 v0, v13, v0, -v2
	v_pack_b32_f16 v0, v1, v0
	s_waitcnt vmcnt(15)
	v_lshrrev_b32_e32 v1, 16, v19
	v_mul_f16_sdwa v2, v14, v1 dst_sel:DWORD dst_unused:UNUSED_PAD src0_sel:WORD_1 src1_sel:DWORD
	v_mul_f16_sdwa v3, v14, v19 dst_sel:DWORD dst_unused:UNUSED_PAD src0_sel:WORD_1 src1_sel:DWORD
	v_fma_f16 v2, v14, v19, v2
	v_fma_f16 v1, v14, v1, -v3
	v_pack_b32_f16 v1, v2, v1
	ds_write2_b32 v27, v0, v1 offset0:216 offset1:252
	s_waitcnt vmcnt(14)
	v_lshrrev_b32_e32 v0, 16, v20
	v_mul_f16_sdwa v1, v15, v0 dst_sel:DWORD dst_unused:UNUSED_PAD src0_sel:WORD_1 src1_sel:DWORD
	v_mul_f16_sdwa v2, v15, v20 dst_sel:DWORD dst_unused:UNUSED_PAD src0_sel:WORD_1 src1_sel:DWORD
	v_fma_f16 v1, v15, v20, v1
	v_fma_f16 v0, v15, v0, -v2
	v_pack_b32_f16 v0, v1, v0
	s_waitcnt vmcnt(13)
	v_lshrrev_b32_e32 v1, 16, v6
	s_waitcnt vmcnt(12)
	v_mul_f16_sdwa v2, v21, v1 dst_sel:DWORD dst_unused:UNUSED_PAD src0_sel:WORD_1 src1_sel:DWORD
	v_mul_f16_sdwa v3, v21, v6 dst_sel:DWORD dst_unused:UNUSED_PAD src0_sel:WORD_1 src1_sel:DWORD
	v_fma_f16 v2, v21, v6, v2
	v_fma_f16 v1, v21, v1, -v3
	v_pack_b32_f16 v1, v2, v1
	v_add_u32_e32 v2, 0x400, v27
	ds_write2_b32 v2, v0, v1 offset0:32 offset1:68
	s_waitcnt vmcnt(11)
	v_lshrrev_b32_e32 v0, 16, v23
	s_waitcnt vmcnt(10)
	v_mul_f16_sdwa v1, v26, v0 dst_sel:DWORD dst_unused:UNUSED_PAD src0_sel:WORD_1 src1_sel:DWORD
	v_mul_f16_sdwa v3, v26, v23 dst_sel:DWORD dst_unused:UNUSED_PAD src0_sel:WORD_1 src1_sel:DWORD
	v_fma_f16 v1, v26, v23, v1
	v_fma_f16 v0, v26, v0, -v3
	v_pack_b32_f16 v0, v1, v0
	s_waitcnt vmcnt(8)
	v_lshrrev_b32_e32 v1, 16, v25
	v_mul_f16_sdwa v3, v30, v1 dst_sel:DWORD dst_unused:UNUSED_PAD src0_sel:WORD_1 src1_sel:DWORD
	v_mul_f16_sdwa v4, v30, v25 dst_sel:DWORD dst_unused:UNUSED_PAD src0_sel:WORD_1 src1_sel:DWORD
	v_fma_f16 v3, v30, v25, v3
	v_fma_f16 v1, v30, v1, -v4
	v_pack_b32_f16 v1, v3, v1
	ds_write2_b32 v2, v0, v1 offset0:104 offset1:140
	s_waitcnt vmcnt(7)
	v_lshrrev_b32_e32 v0, 16, v29
	s_waitcnt vmcnt(6)
	v_mul_f16_sdwa v1, v31, v0 dst_sel:DWORD dst_unused:UNUSED_PAD src0_sel:WORD_1 src1_sel:DWORD
	v_mul_f16_sdwa v3, v31, v29 dst_sel:DWORD dst_unused:UNUSED_PAD src0_sel:WORD_1 src1_sel:DWORD
	v_fma_f16 v1, v31, v29, v1
	v_fma_f16 v0, v31, v0, -v3
	v_pack_b32_f16 v0, v1, v0
	s_waitcnt vmcnt(5)
	v_lshrrev_b32_e32 v1, 16, v32
	s_waitcnt vmcnt(4)
	v_mul_f16_sdwa v3, v34, v1 dst_sel:DWORD dst_unused:UNUSED_PAD src0_sel:WORD_1 src1_sel:DWORD
	v_mul_f16_sdwa v4, v34, v32 dst_sel:DWORD dst_unused:UNUSED_PAD src0_sel:WORD_1 src1_sel:DWORD
	v_fma_f16 v3, v34, v32, v3
	v_fma_f16 v1, v34, v1, -v4
	v_pack_b32_f16 v1, v3, v1
	ds_write2_b32 v2, v0, v1 offset0:176 offset1:212
	s_waitcnt vmcnt(3)
	v_lshrrev_b32_e32 v0, 16, v35
	s_waitcnt vmcnt(2)
	v_mul_f16_sdwa v1, v36, v0 dst_sel:DWORD dst_unused:UNUSED_PAD src0_sel:WORD_1 src1_sel:DWORD
	v_mul_f16_sdwa v2, v36, v35 dst_sel:DWORD dst_unused:UNUSED_PAD src0_sel:WORD_1 src1_sel:DWORD
	v_fma_f16 v1, v36, v35, v1
	v_fma_f16 v0, v36, v0, -v2
	v_pack_b32_f16 v0, v1, v0
	s_waitcnt vmcnt(1)
	v_lshrrev_b32_e32 v1, 16, v33
	s_waitcnt vmcnt(0)
	v_mul_f16_sdwa v2, v37, v1 dst_sel:DWORD dst_unused:UNUSED_PAD src0_sel:WORD_1 src1_sel:DWORD
	v_mul_f16_sdwa v3, v37, v33 dst_sel:DWORD dst_unused:UNUSED_PAD src0_sel:WORD_1 src1_sel:DWORD
	v_fma_f16 v2, v37, v33, v2
	v_fma_f16 v1, v37, v1, -v3
	v_pack_b32_f16 v1, v2, v1
	v_add_u32_e32 v2, 0x600, v27
	ds_write2_b32 v2, v0, v1 offset0:120 offset1:156
.LBB0_3:
	s_or_b64 exec, exec, s[8:9]
	s_load_dwordx2 s[2:3], s[4:5], 0x20
	s_load_dwordx2 s[0:1], s[4:5], 0x8
	s_waitcnt lgkmcnt(0)
	s_barrier
	s_waitcnt lgkmcnt(0)
                                        ; implicit-def: $vgpr4
                                        ; implicit-def: $vgpr8
                                        ; implicit-def: $vgpr6
                                        ; implicit-def: $vgpr13
                                        ; implicit-def: $vgpr2
                                        ; implicit-def: $vgpr10
                                        ; implicit-def: $vgpr0
                                        ; implicit-def: $vgpr15
	s_and_saveexec_b64 s[4:5], vcc
	s_cbranch_execz .LBB0_5
; %bb.4:
	ds_read2_b32 v[4:5], v27 offset1:36
	ds_read2_b32 v[2:3], v27 offset0:72 offset1:108
	ds_read2_b32 v[6:7], v27 offset0:144 offset1:180
	;; [unrolled: 1-line block ×3, first 2 shown]
	v_add_u32_e32 v13, 0x400, v27
	ds_read2_b32 v[8:9], v13 offset0:32 offset1:68
	ds_read2_b32 v[10:11], v13 offset0:104 offset1:140
	;; [unrolled: 1-line block ×3, first 2 shown]
	v_add_u32_e32 v15, 0x600, v27
	ds_read2_b32 v[15:16], v15 offset0:120 offset1:156
.LBB0_5:
	s_or_b64 exec, exec, s[4:5]
	s_waitcnt lgkmcnt(3)
	v_pk_add_f16 v8, v4, v8 neg_lo:[0,1] neg_hi:[0,1]
	s_waitcnt lgkmcnt(1)
	v_pk_add_f16 v13, v6, v13 neg_lo:[0,1] neg_hi:[0,1]
	v_pk_add_f16 v10, v2, v10 neg_lo:[0,1] neg_hi:[0,1]
	s_waitcnt lgkmcnt(0)
	v_pk_add_f16 v15, v0, v15 neg_lo:[0,1] neg_hi:[0,1]
	v_pk_add_f16 v11, v3, v11 neg_lo:[0,1] neg_hi:[0,1]
	v_sub_f16_sdwa v17, v8, v13 dst_sel:DWORD dst_unused:UNUSED_PAD src0_sel:DWORD src1_sel:WORD_1
	v_lshrrev_b32_e32 v18, 16, v8
	v_lshrrev_b32_e32 v22, 16, v10
	v_pk_add_f16 v9, v5, v9 neg_lo:[0,1] neg_hi:[0,1]
	v_pk_add_f16 v16, v1, v16 neg_lo:[0,1] neg_hi:[0,1]
	v_add_f16_e32 v19, v13, v18
	v_fma_f16 v20, v8, 2.0, -v17
	v_add_f16_e32 v23, v15, v22
	v_pk_fma_f16 v8, v4, 2.0, v8 op_sel_hi:[1,0,1] neg_lo:[0,0,1] neg_hi:[0,0,1]
	v_lshrrev_b32_e32 v4, 16, v11
	v_pk_add_f16 v14, v7, v14 neg_lo:[0,1] neg_hi:[0,1]
	v_fma_f16 v18, v18, 2.0, -v19
	v_sub_f16_sdwa v21, v10, v15 dst_sel:DWORD dst_unused:UNUSED_PAD src0_sel:DWORD src1_sel:WORD_1
	v_fma_f16 v22, v22, 2.0, -v23
	v_lshrrev_b32_e32 v26, 16, v9
	v_pk_fma_f16 v6, v6, 2.0, v13 op_sel_hi:[1,0,1] neg_lo:[0,0,1] neg_hi:[0,0,1]
	v_add_f16_e32 v13, v16, v4
	s_mov_b32 s4, 0xb9a8
	s_movk_i32 s5, 0x39a8
	v_fma_f16 v24, v10, 2.0, -v21
	v_sub_f16_sdwa v25, v9, v14 dst_sel:DWORD dst_unused:UNUSED_PAD src0_sel:DWORD src1_sel:WORD_1
	v_add_f16_e32 v29, v14, v26
	v_pk_fma_f16 v5, v5, 2.0, v9 op_sel_hi:[1,0,1] neg_lo:[0,0,1] neg_hi:[0,0,1]
	v_pk_fma_f16 v7, v7, 2.0, v14 op_sel_hi:[1,0,1] neg_lo:[0,0,1] neg_hi:[0,0,1]
	;; [unrolled: 1-line block ×4, first 2 shown]
	v_fma_f16 v31, v4, 2.0, -v13
	v_fma_f16 v3, v22, s4, v18
	v_fma_f16 v4, v21, s5, v17
	v_pk_fma_f16 v0, v0, 2.0, v15 op_sel_hi:[1,0,1] neg_lo:[0,0,1] neg_hi:[0,0,1]
	v_fma_f16 v30, v9, 2.0, -v25
	v_sub_f16_sdwa v9, v11, v16 dst_sel:DWORD dst_unused:UNUSED_PAD src0_sel:DWORD src1_sel:WORD_1
	v_fma_f16 v2, v24, s4, v20
	v_fma_f16 v3, v24, s5, v3
	;; [unrolled: 1-line block ×4, first 2 shown]
	v_pk_fma_f16 v1, v1, 2.0, v16 op_sel_hi:[1,0,1] neg_lo:[0,0,1] neg_hi:[0,0,1]
	v_pk_add_f16 v6, v8, v6 neg_lo:[0,1] neg_hi:[0,1]
	v_pk_add_f16 v0, v10, v0 neg_lo:[0,1] neg_hi:[0,1]
	v_pk_add_f16 v7, v5, v7 neg_lo:[0,1] neg_hi:[0,1]
	v_fma_f16 v11, v11, 2.0, -v9
	v_fma_f16 v23, v21, s5, v4
	v_fma_f16 v4, v17, 2.0, -v24
	v_pk_fma_f16 v17, v10, 2.0, v0 op_sel_hi:[1,0,1] neg_lo:[0,0,1] neg_hi:[0,0,1]
	v_pk_fma_f16 v32, v5, 2.0, v7 op_sel_hi:[1,0,1] neg_lo:[0,0,1] neg_hi:[0,0,1]
	v_pk_add_f16 v5, v14, v1 neg_lo:[0,1] neg_hi:[0,1]
	v_sub_f16_sdwa v10, v6, v0 dst_sel:DWORD dst_unused:UNUSED_PAD src0_sel:DWORD src1_sel:WORD_1
	v_lshrrev_b32_e32 v1, 16, v6
	v_fma_f16 v26, v26, 2.0, -v29
	v_pk_fma_f16 v8, v8, 2.0, v6 op_sel_hi:[1,0,1] neg_lo:[0,0,1] neg_hi:[0,0,1]
	v_add_f16_e32 v40, v0, v1
	v_fma_f16 v0, v6, 2.0, -v10
	v_fma_f16 v6, v11, s4, v30
	v_fma_f16 v41, v31, s4, v6
	;; [unrolled: 1-line block ×5, first 2 shown]
	v_pk_fma_f16 v33, v14, 2.0, v5 op_sel_hi:[1,0,1] neg_lo:[0,0,1] neg_hi:[0,0,1]
	v_fma_f16 v6, v13, s4, v6
	v_fma_f16 v13, v13, s5, v29
	v_lshrrev_b32_e32 v14, 16, v7
	v_fma_f16 v9, v9, s5, v13
	v_sub_f16_sdwa v13, v7, v5 dst_sel:DWORD dst_unused:UNUSED_PAD src0_sel:DWORD src1_sel:WORD_1
	v_add_f16_e32 v21, v5, v14
	v_fma_f16 v1, v1, 2.0, -v40
	v_fma_f16 v5, v7, 2.0, -v13
	;; [unrolled: 1-line block ×3, first 2 shown]
	v_fma_f16 v15, v7, s4, v1
	v_fma_f16 v14, v25, 2.0, -v6
	s_mov_b32 s9, 0xb61f
	v_fma_f16 v35, v5, s5, v15
	v_fma_f16 v5, v5, s4, v0
	;; [unrolled: 1-line block ×3, first 2 shown]
	v_fma_f16 v22, v29, 2.0, -v9
	s_mov_b32 s8, 0xbb64
	v_fma_f16 v15, v7, s4, v5
	v_fma_f16 v5, v14, s9, v4
	v_fma_f16 v16, v22, s8, v5
	v_fma_f16 v5, v19, 2.0, -v23
	v_fma_f16 v7, v22, s9, v5
	s_movk_i32 s10, 0x3b64
	v_fma_f16 v34, v14, s10, v7
	v_fma_f16 v7, v21, s5, v40
	;; [unrolled: 1-line block ×7, first 2 shown]
	s_movk_i32 s4, 0x361f
	v_fma_f16 v7, v9, s10, v23
	v_fma_f16 v13, v10, 2.0, -v21
	v_fma_f16 v10, v18, 2.0, -v3
	;; [unrolled: 1-line block ×3, first 2 shown]
	v_fma_f16 v37, v6, s4, v7
	v_fma_f16 v9, v20, 2.0, -v2
	v_pk_add_f16 v6, v8, v17 neg_lo:[0,1] neg_hi:[0,1]
	v_fma_f16 v17, v30, 2.0, -v41
	v_fma_f16 v19, v18, s8, v10
	v_fma_f16 v36, v17, s4, v19
	;; [unrolled: 1-line block ×3, first 2 shown]
	v_pk_fma_f16 v7, v8, 2.0, v6 op_sel_hi:[1,0,1] neg_lo:[0,0,1] neg_hi:[0,0,1]
	v_pk_add_f16 v8, v32, v33 neg_lo:[0,1] neg_hi:[0,1]
	v_fma_f16 v18, v18, s9, v17
	v_fma_f16 v17, v11, s4, v3
	v_fma_f16 v14, v24, 2.0, -v22
	v_pk_fma_f16 v24, v32, 2.0, v8 op_sel_hi:[1,0,1] neg_lo:[0,0,1] neg_hi:[0,0,1]
	v_fma_f16 v39, v41, s10, v17
	v_fma_f16 v17, v41, s4, v2
	;; [unrolled: 1-line block ×3, first 2 shown]
	v_pk_add_f16 v19, v6, v8 op_sel:[0,1] op_sel_hi:[1,0] neg_lo:[0,1] neg_hi:[0,1]
	v_pk_add_f16 v17, v6, v8 op_sel:[0,1] op_sel_hi:[1,0]
	v_fma_f16 v33, v40, 2.0, -v38
	v_fma_f16 v32, v23, 2.0, -v37
	v_lshlrev_b16_e32 v29, 4, v28
	v_pk_add_f16 v8, v7, v24 neg_lo:[0,1] neg_hi:[0,1]
	s_barrier
	s_and_saveexec_b64 s[4:5], vcc
	s_cbranch_execz .LBB0_7
; %bb.6:
	v_fma_f16 v0, v0, 2.0, -v15
	v_fma_f16 v1, v1, 2.0, -v35
	v_pack_b32_f16 v25, v0, v1
	v_fma_f16 v0, v9, 2.0, -v18
	v_fma_f16 v1, v10, 2.0, -v36
	s_mov_b32 s8, 0xffff
	v_fma_f16 v4, v4, 2.0, -v16
	v_fma_f16 v5, v5, 2.0, -v34
	v_pack_b32_f16 v24, v0, v1
	v_bfi_b32 v0, s8, v19, v17
	v_fma_f16 v1, v2, 2.0, -v20
	v_fma_f16 v2, v3, 2.0, -v39
	s_mov_b32 s8, 0x5040100
	v_pack_b32_f16 v26, v4, v5
	v_lshlrev_b32_e32 v5, 2, v29
	v_pack_b32_f16 v2, v1, v2
	v_pk_fma_f16 v1, v6, 2.0, v0 op_sel_hi:[1,0,1] neg_lo:[0,0,1] neg_hi:[0,0,1]
	v_perm_b32 v4, v32, v14, s8
	v_perm_b32 v3, v33, v13, s8
	v_pk_fma_f16 v23, v7, 2.0, v8 op_sel_hi:[1,0,1] neg_lo:[0,0,1] neg_hi:[0,0,1]
	ds_write_b128 v5, v[1:4] offset:16
	v_perm_b32 v11, v34, v16, s8
	v_perm_b32 v10, v35, v15, s8
	;; [unrolled: 1-line block ×6, first 2 shown]
	ds_write_b128 v5, v[23:26]
	ds_write_b128 v5, v[8:11] offset:32
	ds_write_b128 v5, v[0:3] offset:48
.LBB0_7:
	s_or_b64 exec, exec, s[4:5]
	v_and_b32_e32 v23, 15, v28
	s_load_dwordx4 s[8:11], s[2:3], 0x0
	v_mad_u64_u32 v[4:5], s[2:3], v23, 20, s[0:1]
	s_waitcnt lgkmcnt(0)
	s_barrier
	global_load_dwordx4 v[0:3], v[4:5], off
	global_load_dword v11, v[4:5], off offset:16
	v_add_u32_e32 v47, 0x200, v27
	ds_read2_b32 v[4:5], v27 offset1:96
	v_add_u32_e32 v46, 0x400, v27
	ds_read2_b32 v[6:7], v47 offset0:64 offset1:160
	ds_read2_b32 v[9:10], v46 offset0:128 offset1:224
	s_movk_i32 s3, 0x3aee
	s_mov_b32 s2, 0xbaee
	s_waitcnt lgkmcnt(2)
	v_lshrrev_b32_e32 v25, 16, v5
	s_waitcnt lgkmcnt(1)
	v_lshrrev_b32_e32 v26, 16, v6
	v_lshrrev_b32_e32 v30, 16, v7
	s_waitcnt lgkmcnt(0)
	v_lshrrev_b32_e32 v31, 16, v9
	v_lshrrev_b32_e32 v40, 16, v10
	;; [unrolled: 1-line block ×3, first 2 shown]
	s_waitcnt vmcnt(0)
	s_barrier
	v_mul_f16_sdwa v42, v5, v0 dst_sel:DWORD dst_unused:UNUSED_PAD src0_sel:DWORD src1_sel:WORD_1
	v_mul_f16_sdwa v48, v7, v2 dst_sel:DWORD dst_unused:UNUSED_PAD src0_sel:DWORD src1_sel:WORD_1
	;; [unrolled: 1-line block ×10, first 2 shown]
	v_fma_f16 v25, v25, v0, v42
	v_fma_f16 v30, v30, v2, v48
	v_fma_f16 v40, v40, v11, v52
	v_fma_f16 v5, v5, v0, -v41
	v_fma_f16 v6, v6, v1, -v43
	v_fma_f16 v26, v26, v1, v44
	v_fma_f16 v7, v7, v2, -v45
	v_fma_f16 v9, v9, v3, -v49
	v_fma_f16 v31, v31, v3, v50
	v_fma_f16 v10, v10, v11, -v51
	v_sub_f16_e32 v49, v30, v40
	v_add_f16_e32 v50, v25, v30
	v_add_f16_e32 v30, v30, v40
	;; [unrolled: 1-line block ×3, first 2 shown]
	v_sub_f16_e32 v43, v26, v31
	v_add_f16_e32 v44, v24, v26
	v_add_f16_e32 v26, v26, v31
	;; [unrolled: 1-line block ×4, first 2 shown]
	v_sub_f16_e32 v7, v7, v10
	v_fma_f16 v25, v30, -0.5, v25
	v_add_f16_e32 v42, v6, v9
	v_sub_f16_e32 v6, v6, v9
	v_add_f16_e32 v9, v41, v9
	v_fma_f16 v24, v26, -0.5, v24
	v_fma_f16 v5, v48, -0.5, v5
	v_fma_f16 v41, v7, s2, v25
	v_fma_f16 v7, v7, s3, v25
	v_add_f16_e32 v31, v44, v31
	v_add_f16_e32 v10, v45, v10
	;; [unrolled: 1-line block ×3, first 2 shown]
	v_fma_f16 v40, v6, s2, v24
	v_fma_f16 v6, v6, s3, v24
	;; [unrolled: 1-line block ×4, first 2 shown]
	v_mul_f16_e32 v44, -0.5, v7
	v_fma_f16 v4, v42, -0.5, v4
	v_add_f16_e32 v25, v9, v10
	v_add_f16_e32 v42, v31, v26
	v_sub_f16_e32 v9, v9, v10
	v_sub_f16_e32 v10, v31, v26
	v_mul_f16_e32 v31, -0.5, v5
	v_fma_f16 v5, v5, s2, v44
	v_fma_f16 v30, v43, s3, v4
	;; [unrolled: 1-line block ×3, first 2 shown]
	v_mul_f16_e32 v26, 0x3aee, v41
	v_mul_f16_e32 v43, 0xbaee, v24
	v_add_f16_e32 v44, v6, v5
	v_sub_f16_e32 v5, v6, v5
	v_lshrrev_b32_e32 v6, 4, v28
	v_fma_f16 v24, v24, 0.5, v26
	v_fma_f16 v26, v41, 0.5, v43
	v_mul_u32_u24_e32 v6, 0x60, v6
	v_fma_f16 v7, v7, s3, v31
	v_add_f16_e32 v31, v30, v24
	v_add_f16_e32 v43, v40, v26
	v_or_b32_e32 v6, v6, v23
	v_add_f16_e32 v41, v4, v7
	v_sub_f16_e32 v24, v30, v24
	v_lshlrev_b32_e32 v30, 2, v6
	v_pack_b32_f16 v6, v25, v42
	v_pack_b32_f16 v23, v31, v43
	ds_write2_b32 v30, v6, v23 offset1:16
	v_pack_b32_f16 v6, v41, v44
	v_pack_b32_f16 v9, v9, v10
	ds_write2_b32 v30, v6, v9 offset0:32 offset1:48
	v_mad_u64_u32 v[9:10], s[0:1], v28, 20, s[0:1]
	v_sub_f16_e32 v4, v4, v7
	v_sub_f16_e32 v7, v40, v26
	v_pack_b32_f16 v6, v24, v7
	v_pack_b32_f16 v4, v4, v5
	ds_write2_b32 v30, v6, v4 offset0:64 offset1:80
	s_waitcnt lgkmcnt(0)
	s_barrier
	global_load_dwordx4 v[4:7], v[9:10], off offset:320
	global_load_dword v31, v[9:10], off offset:336
	ds_read2_b32 v[9:10], v27 offset1:96
	ds_read2_b32 v[23:24], v47 offset0:64 offset1:160
	ds_read2_b32 v[25:26], v46 offset0:128 offset1:224
	s_waitcnt lgkmcnt(2)
	v_lshrrev_b32_e32 v41, 16, v10
	s_waitcnt lgkmcnt(1)
	v_lshrrev_b32_e32 v42, 16, v23
	v_lshrrev_b32_e32 v43, 16, v24
	s_waitcnt lgkmcnt(0)
	v_lshrrev_b32_e32 v44, 16, v25
	v_lshrrev_b32_e32 v45, 16, v26
	;; [unrolled: 1-line block ×3, first 2 shown]
	s_waitcnt vmcnt(1)
	v_mul_f16_sdwa v49, v10, v4 dst_sel:DWORD dst_unused:UNUSED_PAD src0_sel:DWORD src1_sel:WORD_1
	v_mul_f16_sdwa v50, v42, v5 dst_sel:DWORD dst_unused:UNUSED_PAD src0_sel:DWORD src1_sel:WORD_1
	;; [unrolled: 1-line block ×7, first 2 shown]
	s_waitcnt vmcnt(0)
	v_mul_f16_sdwa v56, v45, v31 dst_sel:DWORD dst_unused:UNUSED_PAD src0_sel:DWORD src1_sel:WORD_1
	v_mul_f16_sdwa v57, v26, v31 dst_sel:DWORD dst_unused:UNUSED_PAD src0_sel:DWORD src1_sel:WORD_1
	;; [unrolled: 1-line block ×3, first 2 shown]
	v_fma_f16 v23, v23, v5, -v50
	v_fma_f16 v24, v24, v6, -v52
	v_fma_f16 v41, v41, v4, v49
	v_fma_f16 v42, v42, v5, v51
	;; [unrolled: 1-line block ×3, first 2 shown]
	v_fma_f16 v25, v25, v7, -v54
	v_fma_f16 v44, v44, v7, v55
	v_fma_f16 v26, v26, v31, -v56
	v_fma_f16 v45, v45, v31, v57
	v_fma_f16 v10, v10, v4, -v48
	v_add_f16_e32 v49, v23, v25
	v_sub_f16_e32 v50, v42, v44
	v_add_f16_e32 v51, v40, v42
	v_add_f16_e32 v42, v42, v44
	v_add_f16_e32 v53, v24, v26
	v_sub_f16_e32 v54, v43, v45
	v_add_f16_e32 v55, v41, v43
	v_add_f16_e32 v43, v43, v45
	;; [unrolled: 1-line block ×3, first 2 shown]
	v_sub_f16_e32 v23, v23, v25
	v_add_f16_e32 v52, v10, v24
	v_sub_f16_e32 v24, v24, v26
	v_fma_f16 v9, v49, -0.5, v9
	v_fma_f16 v40, v42, -0.5, v40
	;; [unrolled: 1-line block ×4, first 2 shown]
	v_add_f16_e32 v25, v48, v25
	v_add_f16_e32 v48, v51, v44
	;; [unrolled: 1-line block ×3, first 2 shown]
	v_fma_f16 v43, v50, s3, v9
	v_fma_f16 v49, v50, s2, v9
	;; [unrolled: 1-line block ×8, first 2 shown]
	v_add_f16_e32 v9, v25, v26
	v_sub_f16_e32 v24, v25, v26
	v_mul_f16_e32 v25, 0x3aee, v10
	v_mul_f16_e32 v26, -0.5, v44
	v_mul_f16_e32 v42, 0xbaee, v23
	v_add_f16_e32 v45, v55, v45
	v_fma_f16 v25, v23, 0.5, v25
	v_fma_f16 v26, v41, s3, v26
	v_fma_f16 v52, v10, 0.5, v42
	v_mul_f16_e32 v41, -0.5, v41
	v_add_f16_e32 v40, v48, v45
	v_add_f16_e32 v10, v43, v25
	;; [unrolled: 1-line block ×3, first 2 shown]
	v_fma_f16 v53, v44, s2, v41
	v_add_f16_e32 v23, v49, v26
	v_add_f16_e32 v44, v51, v53
	v_sub_f16_e32 v25, v43, v25
	v_sub_f16_e32 v26, v49, v26
	v_sub_f16_e32 v43, v48, v45
	v_pack_b32_f16 v48, v9, v40
	v_pack_b32_f16 v49, v10, v42
	v_sub_f16_e32 v41, v50, v52
	v_sub_f16_e32 v45, v51, v53
	ds_write2_b32 v27, v48, v49 offset1:96
	v_pack_b32_f16 v48, v23, v44
	v_pack_b32_f16 v49, v24, v43
	ds_write2_b32 v47, v48, v49 offset0:64 offset1:160
	v_pack_b32_f16 v47, v25, v41
	v_pack_b32_f16 v48, v26, v45
	ds_write2_b32 v46, v47, v48 offset0:128 offset1:224
	s_waitcnt lgkmcnt(0)
	s_barrier
	s_and_saveexec_b64 s[0:1], vcc
	s_cbranch_execz .LBB0_9
; %bb.8:
	global_load_dword v50, v27, s[6:7] offset:2304
	ds_read2_b32 v[47:48], v27 offset1:36
	s_add_u32 s2, s6, 0x900
	s_addc_u32 s3, s7, 0
	s_waitcnt lgkmcnt(0)
	v_lshrrev_b32_e32 v49, 16, v47
	s_waitcnt vmcnt(0)
	v_mul_f16_sdwa v51, v49, v50 dst_sel:DWORD dst_unused:UNUSED_PAD src0_sel:DWORD src1_sel:WORD_1
	v_fma_f16 v51, v47, v50, -v51
	v_mul_f16_sdwa v47, v47, v50 dst_sel:DWORD dst_unused:UNUSED_PAD src0_sel:DWORD src1_sel:WORD_1
	v_fma_f16 v47, v49, v50, v47
	global_load_dword v50, v27, s[2:3] offset:144
	v_lshrrev_b32_e32 v49, 16, v48
	v_pack_b32_f16 v47, v51, v47
	s_waitcnt vmcnt(0)
	v_mul_f16_sdwa v51, v49, v50 dst_sel:DWORD dst_unused:UNUSED_PAD src0_sel:DWORD src1_sel:WORD_1
	v_fma_f16 v51, v48, v50, -v51
	v_mul_f16_sdwa v48, v48, v50 dst_sel:DWORD dst_unused:UNUSED_PAD src0_sel:DWORD src1_sel:WORD_1
	v_fma_f16 v48, v49, v50, v48
	global_load_dword v50, v27, s[2:3] offset:288
	v_pack_b32_f16 v48, v51, v48
	ds_write2_b32 v27, v47, v48 offset1:36
	ds_read2_b32 v[47:48], v27 offset0:72 offset1:108
	s_waitcnt lgkmcnt(0)
	v_lshrrev_b32_e32 v49, 16, v47
	s_waitcnt vmcnt(0)
	v_mul_f16_sdwa v51, v49, v50 dst_sel:DWORD dst_unused:UNUSED_PAD src0_sel:DWORD src1_sel:WORD_1
	v_fma_f16 v51, v47, v50, -v51
	v_mul_f16_sdwa v47, v47, v50 dst_sel:DWORD dst_unused:UNUSED_PAD src0_sel:DWORD src1_sel:WORD_1
	v_fma_f16 v47, v49, v50, v47
	global_load_dword v50, v27, s[2:3] offset:432
	v_lshrrev_b32_e32 v49, 16, v48
	v_pack_b32_f16 v47, v51, v47
	s_waitcnt vmcnt(0)
	v_mul_f16_sdwa v51, v49, v50 dst_sel:DWORD dst_unused:UNUSED_PAD src0_sel:DWORD src1_sel:WORD_1
	v_fma_f16 v51, v48, v50, -v51
	v_mul_f16_sdwa v48, v48, v50 dst_sel:DWORD dst_unused:UNUSED_PAD src0_sel:DWORD src1_sel:WORD_1
	v_fma_f16 v48, v49, v50, v48
	global_load_dword v50, v27, s[2:3] offset:576
	v_pack_b32_f16 v48, v51, v48
	ds_write2_b32 v27, v47, v48 offset0:72 offset1:108
	ds_read2_b32 v[47:48], v27 offset0:144 offset1:180
	s_waitcnt lgkmcnt(0)
	v_lshrrev_b32_e32 v49, 16, v47
	s_waitcnt vmcnt(0)
	v_mul_f16_sdwa v51, v49, v50 dst_sel:DWORD dst_unused:UNUSED_PAD src0_sel:DWORD src1_sel:WORD_1
	v_fma_f16 v51, v47, v50, -v51
	v_mul_f16_sdwa v47, v47, v50 dst_sel:DWORD dst_unused:UNUSED_PAD src0_sel:DWORD src1_sel:WORD_1
	v_fma_f16 v47, v49, v50, v47
	global_load_dword v50, v27, s[2:3] offset:720
	v_lshrrev_b32_e32 v49, 16, v48
	v_pack_b32_f16 v47, v51, v47
	s_waitcnt vmcnt(0)
	v_mul_f16_sdwa v51, v49, v50 dst_sel:DWORD dst_unused:UNUSED_PAD src0_sel:DWORD src1_sel:WORD_1
	v_fma_f16 v51, v48, v50, -v51
	v_mul_f16_sdwa v48, v48, v50 dst_sel:DWORD dst_unused:UNUSED_PAD src0_sel:DWORD src1_sel:WORD_1
	v_fma_f16 v48, v49, v50, v48
	global_load_dword v50, v27, s[2:3] offset:864
	v_pack_b32_f16 v48, v51, v48
	ds_write2_b32 v27, v47, v48 offset0:144 offset1:180
	;; [unrolled: 19-line block ×6, first 2 shown]
	v_add_u32_e32 v48, 0x600, v27
	ds_read2_b32 v[46:47], v48 offset0:120 offset1:156
	s_waitcnt lgkmcnt(0)
	v_lshrrev_b32_e32 v49, 16, v46
	s_waitcnt vmcnt(0)
	v_mul_f16_sdwa v51, v49, v50 dst_sel:DWORD dst_unused:UNUSED_PAD src0_sel:DWORD src1_sel:WORD_1
	v_fma_f16 v51, v46, v50, -v51
	v_mul_f16_sdwa v46, v46, v50 dst_sel:DWORD dst_unused:UNUSED_PAD src0_sel:DWORD src1_sel:WORD_1
	v_fma_f16 v46, v49, v50, v46
	global_load_dword v50, v27, s[2:3] offset:2160
	v_lshrrev_b32_e32 v49, 16, v47
	v_pack_b32_f16 v46, v51, v46
	s_waitcnt vmcnt(0)
	v_mul_f16_sdwa v51, v49, v50 dst_sel:DWORD dst_unused:UNUSED_PAD src0_sel:DWORD src1_sel:WORD_1
	v_fma_f16 v51, v47, v50, -v51
	v_mul_f16_sdwa v47, v47, v50 dst_sel:DWORD dst_unused:UNUSED_PAD src0_sel:DWORD src1_sel:WORD_1
	v_fma_f16 v47, v49, v50, v47
	v_pack_b32_f16 v47, v51, v47
	ds_write2_b32 v48, v46, v47 offset0:120 offset1:156
.LBB0_9:
	s_or_b64 exec, exec, s[0:1]
	v_lshrrev_b32_e32 v46, 16, v17
	s_waitcnt lgkmcnt(0)
	s_barrier
	s_and_saveexec_b64 s[0:1], vcc
	s_cbranch_execz .LBB0_11
; %bb.10:
	v_add_u32_e32 v8, 0x400, v27
	ds_read2_b32 v[9:10], v27 offset1:36
	ds_read2_b32 v[23:24], v27 offset0:72 offset1:108
	ds_read2_b32 v[25:26], v27 offset0:144 offset1:180
	;; [unrolled: 1-line block ×5, first 2 shown]
	v_add_u32_e32 v8, 0x600, v27
	ds_read2_b32 v[13:14], v27 offset0:216 offset1:252
	ds_read2_b32 v[21:22], v8 offset0:120 offset1:156
	s_waitcnt lgkmcnt(7)
	v_lshrrev_b32_e32 v40, 16, v9
	v_lshrrev_b32_e32 v42, 16, v10
	s_waitcnt lgkmcnt(6)
	v_lshrrev_b32_e32 v44, 16, v23
	v_lshrrev_b32_e32 v43, 16, v24
	;; [unrolled: 3-line block ×4, first 2 shown]
	v_lshrrev_b32_e32 v36, 16, v18
	v_lshrrev_b32_e32 v35, 16, v15
	;; [unrolled: 1-line block ×5, first 2 shown]
	s_waitcnt lgkmcnt(0)
	v_lshrrev_b32_e32 v38, 16, v21
	v_lshrrev_b32_e32 v37, 16, v22
	v_mov_b32_e32 v8, v17
.LBB0_11:
	s_or_b64 exec, exec, s[0:1]
	s_barrier
	s_and_saveexec_b64 s[0:1], vcc
	s_cbranch_execz .LBB0_13
; %bb.12:
	v_sub_f16_e32 v17, v44, v35
	v_sub_f16_e32 v21, v13, v21
	;; [unrolled: 1-line block ×14, first 2 shown]
	v_sub_f16_sdwa v8, v40, v8 dst_sel:DWORD dst_unused:UNUSED_PAD src0_sel:DWORD src1_sel:WORD_1
	v_sub_f16_e32 v19, v25, v19
	v_add_f16_e32 v47, v38, v15
	v_add_f16_e32 v49, v46, v48
	s_movk_i32 s2, 0x39a8
	v_sub_f16_e32 v52, v36, v20
	v_add_f16_e32 v55, v39, v18
	v_sub_f16_e32 v59, v8, v19
	v_fma_f16 v44, v44, 2.0, -v17
	v_fma_f16 v33, v33, 2.0, -v38
	;; [unrolled: 1-line block ×16, first 2 shown]
	v_sub_f16_e32 v35, v17, v21
	v_fma_f16 v50, v47, s2, v49
	v_add_f16_e32 v54, v37, v16
	v_sub_f16_e32 v33, v44, v33
	v_sub_f16_e32 v19, v9, v19
	;; [unrolled: 1-line block ×8, first 2 shown]
	v_fma_f16 v50, v35, s2, v50
	v_sub_f16_e32 v51, v34, v22
	s_mov_b32 s3, 0xb9a8
	v_fma_f16 v56, v54, s2, v55
	v_fma_f16 v60, v35, s2, v59
	v_add_f16_e32 v25, v33, v19
	v_sub_f16_e32 v22, v39, v14
	v_add_f16_e32 v26, v32, v20
	v_sub_f16_e32 v21, v41, v13
	v_fma_f16 v17, v17, 2.0, -v35
	v_fma_f16 v35, v48, 2.0, -v49
	;; [unrolled: 1-line block ×3, first 2 shown]
	v_fma_f16 v53, v51, s2, v52
	v_fma_f16 v56, v51, s2, v56
	s_movk_i32 s4, 0x3b64
	v_fma_f16 v60, v47, s3, v60
	v_fma_f16 v37, v26, s2, v25
	;; [unrolled: 1-line block ×4, first 2 shown]
	v_fma_f16 v36, v36, 2.0, -v52
	v_fma_f16 v34, v34, 2.0, -v51
	;; [unrolled: 1-line block ×3, first 2 shown]
	v_fma_f16 v53, v54, s3, v53
	v_fma_f16 v57, v56, s4, v50
	s_movk_i32 s5, 0x361f
	v_fma_f16 v37, v22, s2, v37
	v_fma_f16 v45, v26, s3, v45
	;; [unrolled: 1-line block ×4, first 2 shown]
	v_fma_f16 v16, v16, 2.0, -v54
	v_fma_f16 v18, v18, 2.0, -v55
	v_fma_f16 v17, v17, s3, v8
	v_fma_f16 v9, v9, 2.0, -v19
	v_fma_f16 v10, v10, 2.0, -v20
	;; [unrolled: 1-line block ×4, first 2 shown]
	v_fma_f16 v57, v53, s5, v57
	v_fma_f16 v43, v25, 2.0, -v37
	v_fma_f16 v46, v21, 2.0, -v45
	v_fma_f16 v48, v16, s3, v48
	v_fma_f16 v16, v16, s3, v18
	;; [unrolled: 1-line block ×3, first 2 shown]
	v_fma_f16 v13, v23, 2.0, -v13
	v_fma_f16 v23, v38, 2.0, -v39
	;; [unrolled: 1-line block ×4, first 2 shown]
	v_fma_f16 v25, v20, s3, v19
	v_fma_f16 v21, v41, 2.0, -v21
	v_fma_f16 v58, v50, 2.0, -v57
	s_mov_b32 s14, 0xb61f
	v_fma_f16 v16, v34, s2, v16
	v_fma_f16 v17, v48, s5, v15
	s_mov_b32 s15, 0xbb64
	v_sub_f16_e32 v13, v9, v13
	v_sub_f16_e32 v32, v23, v32
	v_fma_f16 v40, v40, 2.0, -v41
	v_fma_f16 v33, v44, 2.0, -v33
	;; [unrolled: 1-line block ×6, first 2 shown]
	v_fma_f16 v25, v22, s2, v25
	v_fma_f16 v22, v22, s3, v21
	;; [unrolled: 1-line block ×5, first 2 shown]
	v_add_f16_e32 v38, v32, v13
	v_sub_f16_e32 v33, v40, v33
	v_sub_f16_e32 v14, v10, v14
	v_fma_f16 v53, v52, s14, v49
	v_fma_f16 v55, v59, 2.0, -v60
	v_fma_f16 v20, v20, s3, v22
	v_fma_f16 v22, v35, 2.0, -v47
	v_fma_f16 v26, v36, 2.0, -v48
	;; [unrolled: 1-line block ×6, first 2 shown]
	v_sub_f16_e32 v24, v33, v14
	v_fma_f16 v53, v50, s4, v53
	v_fma_f16 v50, v50, s14, v55
	;; [unrolled: 1-line block ×4, first 2 shown]
	v_fma_f16 v9, v9, 2.0, -v13
	v_fma_f16 v10, v10, 2.0, -v14
	v_fma_f16 v13, v40, 2.0, -v33
	v_fma_f16 v14, v23, 2.0, -v32
	v_fma_f16 v50, v52, s15, v50
	v_fma_f16 v18, v26, s5, v18
	v_fma_f16 v26, v16, s14, v15
	v_sub_f16_e32 v10, v9, v10
	v_sub_f16_e32 v23, v13, v14
	v_fma_f16 v61, v56, s14, v61
	v_fma_f16 v34, v48, s4, v34
	v_fma_f16 v49, v49, 2.0, -v53
	v_fma_f16 v52, v55, 2.0, -v50
	v_fma_f16 v19, v19, 2.0, -v25
	v_fma_f16 v21, v21, 2.0, -v20
	v_fma_f16 v22, v22, 2.0, -v18
	v_fma_f16 v8, v8, 2.0, -v26
	v_fma_f16 v9, v9, 2.0, -v10
	v_fma_f16 v13, v13, 2.0, -v23
	v_fma_f16 v62, v60, 2.0, -v61
	v_fma_f16 v51, v47, 2.0, -v34
	v_fma_f16 v44, v33, 2.0, -v24
	v_lshlrev_b32_e32 v29, 2, v29
	v_pack_b32_f16 v16, v49, v52
	v_pack_b32_f16 v15, v19, v21
	;; [unrolled: 1-line block ×4, first 2 shown]
	ds_write_b128 v29, v[13:16]
	v_pack_b32_f16 v16, v58, v62
	v_pack_b32_f16 v15, v43, v46
	v_pack_b32_f16 v13, v42, v44
	v_pack_b32_f16 v14, v51, v54
	ds_write_b128 v29, v[13:16] offset:16
	v_pack_b32_f16 v16, v53, v50
	v_pack_b32_f16 v15, v25, v20
	v_pack_b32_f16 v13, v10, v23
	v_pack_b32_f16 v14, v18, v26
	ds_write_b128 v29, v[13:16] offset:32
	;; [unrolled: 5-line block ×3, first 2 shown]
.LBB0_13:
	s_or_b64 exec, exec, s[0:1]
	s_waitcnt lgkmcnt(0)
	s_barrier
	ds_read2_b32 v[13:14], v27 offset1:96
	v_add_u32_e32 v9, 0x200, v27
	ds_read2_b32 v[15:16], v9 offset0:64 offset1:160
	v_add_u32_e32 v8, 0x400, v27
	ds_read2_b32 v[17:18], v8 offset0:128 offset1:224
	s_waitcnt lgkmcnt(2)
	v_lshrrev_b32_e32 v19, 16, v14
	v_mul_f16_sdwa v24, v0, v19 dst_sel:DWORD dst_unused:UNUSED_PAD src0_sel:WORD_1 src1_sel:DWORD
	s_waitcnt lgkmcnt(1)
	v_lshrrev_b32_e32 v20, 16, v15
	v_fma_f16 v24, v0, v14, v24
	v_mul_f16_sdwa v14, v0, v14 dst_sel:DWORD dst_unused:UNUSED_PAD src0_sel:WORD_1 src1_sel:DWORD
	v_fma_f16 v0, v0, v19, -v14
	v_mul_f16_sdwa v14, v1, v20 dst_sel:DWORD dst_unused:UNUSED_PAD src0_sel:WORD_1 src1_sel:DWORD
	v_lshrrev_b32_e32 v21, 16, v16
	v_fma_f16 v14, v1, v15, v14
	v_mul_f16_sdwa v15, v1, v15 dst_sel:DWORD dst_unused:UNUSED_PAD src0_sel:WORD_1 src1_sel:DWORD
	v_fma_f16 v1, v1, v20, -v15
	v_mul_f16_sdwa v15, v2, v21 dst_sel:DWORD dst_unused:UNUSED_PAD src0_sel:WORD_1 src1_sel:DWORD
	s_waitcnt lgkmcnt(0)
	v_lshrrev_b32_e32 v22, 16, v17
	v_fma_f16 v15, v2, v16, v15
	v_mul_f16_sdwa v16, v2, v16 dst_sel:DWORD dst_unused:UNUSED_PAD src0_sel:WORD_1 src1_sel:DWORD
	v_fma_f16 v2, v2, v21, -v16
	v_mul_f16_sdwa v16, v3, v22 dst_sel:DWORD dst_unused:UNUSED_PAD src0_sel:WORD_1 src1_sel:DWORD
	v_lshrrev_b32_e32 v23, 16, v18
	v_fma_f16 v16, v3, v17, v16
	v_mul_f16_sdwa v17, v3, v17 dst_sel:DWORD dst_unused:UNUSED_PAD src0_sel:WORD_1 src1_sel:DWORD
	v_fma_f16 v3, v3, v22, -v17
	v_mul_f16_sdwa v17, v11, v23 dst_sel:DWORD dst_unused:UNUSED_PAD src0_sel:WORD_1 src1_sel:DWORD
	v_fma_f16 v17, v11, v18, v17
	v_mul_f16_sdwa v18, v11, v18 dst_sel:DWORD dst_unused:UNUSED_PAD src0_sel:WORD_1 src1_sel:DWORD
	v_add_f16_e32 v19, v14, v16
	v_lshrrev_b32_e32 v10, 16, v13
	v_fma_f16 v11, v11, v23, -v18
	v_add_f16_e32 v18, v13, v14
	v_fma_f16 v13, v19, -0.5, v13
	v_sub_f16_e32 v19, v1, v3
	s_mov_b32 s0, 0xbaee
	s_movk_i32 s1, 0x3aee
	v_fma_f16 v20, v19, s0, v13
	v_fma_f16 v13, v19, s1, v13
	v_add_f16_e32 v19, v10, v1
	v_add_f16_e32 v19, v19, v3
	;; [unrolled: 1-line block ×3, first 2 shown]
	v_sub_f16_e32 v3, v14, v16
	v_add_f16_e32 v14, v15, v17
	v_add_f16_e32 v18, v18, v16
	v_fma_f16 v14, v14, -0.5, v24
	v_sub_f16_e32 v16, v2, v11
	v_fma_f16 v21, v16, s0, v14
	v_fma_f16 v14, v16, s1, v14
	v_add_f16_e32 v16, v0, v2
	v_add_f16_e32 v2, v2, v11
	v_fma_f16 v0, v2, -0.5, v0
	v_sub_f16_e32 v2, v15, v17
	v_fma_f16 v1, v1, -0.5, v10
	v_add_f16_e32 v16, v16, v11
	v_fma_f16 v11, v2, s1, v0
	v_fma_f16 v10, v3, s1, v1
	;; [unrolled: 1-line block ×3, first 2 shown]
	v_add_f16_e32 v3, v24, v15
	v_fma_f16 v0, v2, s0, v0
	v_mul_f16_e32 v15, 0xbaee, v11
	v_mul_f16_e32 v11, 0.5, v11
	v_add_f16_e32 v3, v3, v17
	v_fma_f16 v15, v21, 0.5, v15
	v_mul_f16_e32 v22, 0xbaee, v0
	v_fma_f16 v11, v21, s1, v11
	v_mul_f16_e32 v0, -0.5, v0
	v_add_f16_e32 v2, v18, v3
	v_add_f16_e32 v17, v20, v15
	v_fma_f16 v22, v14, -0.5, v22
	v_add_f16_e32 v24, v19, v16
	v_add_f16_e32 v21, v10, v11
	v_fma_f16 v0, v14, s1, v0
	v_add_f16_e32 v23, v13, v22
	v_add_f16_e32 v14, v1, v0
	v_sub_f16_e32 v3, v18, v3
	v_sub_f16_e32 v16, v19, v16
	;; [unrolled: 1-line block ×3, first 2 shown]
	v_pack_b32_f16 v1, v2, v24
	v_pack_b32_f16 v2, v17, v21
	v_sub_f16_e32 v15, v20, v15
	v_sub_f16_e32 v13, v13, v22
	v_sub_f16_e32 v10, v10, v11
	s_barrier
	ds_write2_b32 v30, v1, v2 offset1:16
	v_pack_b32_f16 v1, v23, v14
	v_pack_b32_f16 v2, v3, v16
	ds_write2_b32 v30, v1, v2 offset0:32 offset1:48
	v_pack_b32_f16 v1, v15, v10
	v_pack_b32_f16 v0, v13, v0
	ds_write2_b32 v30, v1, v0 offset0:64 offset1:80
	s_waitcnt lgkmcnt(0)
	s_barrier
	ds_read2_b32 v[0:1], v27 offset1:96
	ds_read2_b32 v[2:3], v9 offset0:64 offset1:160
	ds_read2_b32 v[10:11], v8 offset0:128 offset1:224
	s_waitcnt lgkmcnt(2)
	v_lshrrev_b32_e32 v14, 16, v1
	v_mul_f16_sdwa v19, v4, v14 dst_sel:DWORD dst_unused:UNUSED_PAD src0_sel:WORD_1 src1_sel:DWORD
	s_waitcnt lgkmcnt(1)
	v_lshrrev_b32_e32 v15, 16, v2
	v_fma_f16 v19, v4, v1, v19
	v_mul_f16_sdwa v1, v4, v1 dst_sel:DWORD dst_unused:UNUSED_PAD src0_sel:WORD_1 src1_sel:DWORD
	v_fma_f16 v1, v4, v14, -v1
	v_mul_f16_sdwa v4, v5, v15 dst_sel:DWORD dst_unused:UNUSED_PAD src0_sel:WORD_1 src1_sel:DWORD
	v_lshrrev_b32_e32 v16, 16, v3
	v_fma_f16 v4, v5, v2, v4
	v_mul_f16_sdwa v2, v5, v2 dst_sel:DWORD dst_unused:UNUSED_PAD src0_sel:WORD_1 src1_sel:DWORD
	v_fma_f16 v2, v5, v15, -v2
	v_mul_f16_sdwa v5, v6, v16 dst_sel:DWORD dst_unused:UNUSED_PAD src0_sel:WORD_1 src1_sel:DWORD
	s_waitcnt lgkmcnt(0)
	v_lshrrev_b32_e32 v17, 16, v10
	v_fma_f16 v5, v6, v3, v5
	v_mul_f16_sdwa v3, v6, v3 dst_sel:DWORD dst_unused:UNUSED_PAD src0_sel:WORD_1 src1_sel:DWORD
	v_fma_f16 v3, v6, v16, -v3
	v_mul_f16_sdwa v6, v7, v17 dst_sel:DWORD dst_unused:UNUSED_PAD src0_sel:WORD_1 src1_sel:DWORD
	v_fma_f16 v6, v7, v10, v6
	v_mul_f16_sdwa v10, v7, v10 dst_sel:DWORD dst_unused:UNUSED_PAD src0_sel:WORD_1 src1_sel:DWORD
	v_lshrrev_b32_e32 v18, 16, v11
	v_fma_f16 v7, v7, v17, -v10
	v_add_f16_e32 v15, v4, v6
	v_lshrrev_b32_e32 v13, 16, v0
	v_mul_f16_sdwa v10, v31, v18 dst_sel:DWORD dst_unused:UNUSED_PAD src0_sel:WORD_1 src1_sel:DWORD
	v_add_f16_e32 v14, v0, v4
	v_fma_f16 v0, v15, -0.5, v0
	v_sub_f16_e32 v15, v2, v7
	v_fma_f16 v10, v31, v11, v10
	v_mul_f16_sdwa v11, v31, v11 dst_sel:DWORD dst_unused:UNUSED_PAD src0_sel:WORD_1 src1_sel:DWORD
	v_fma_f16 v16, v15, s0, v0
	v_fma_f16 v0, v15, s1, v0
	v_add_f16_e32 v15, v13, v2
	v_fma_f16 v11, v31, v18, -v11
	v_add_f16_e32 v15, v15, v7
	v_add_f16_e32 v2, v2, v7
	;; [unrolled: 1-line block ×3, first 2 shown]
	v_fma_f16 v2, v2, -0.5, v13
	v_fma_f16 v7, v7, -0.5, v19
	v_sub_f16_e32 v13, v3, v11
	v_fma_f16 v17, v13, s0, v7
	v_fma_f16 v7, v13, s1, v7
	v_add_f16_e32 v13, v1, v3
	v_add_f16_e32 v3, v3, v11
	v_sub_f16_e32 v4, v4, v6
	v_fma_f16 v1, v3, -0.5, v1
	v_sub_f16_e32 v3, v5, v10
	v_add_f16_e32 v14, v14, v6
	v_fma_f16 v6, v4, s1, v2
	v_fma_f16 v2, v4, s0, v2
	v_add_f16_e32 v4, v19, v5
	v_fma_f16 v5, v3, s1, v1
	v_add_f16_e32 v4, v4, v10
	v_fma_f16 v1, v3, s0, v1
	v_mul_f16_e32 v10, 0xbaee, v5
	v_mul_f16_e32 v5, 0.5, v5
	v_add_f16_e32 v13, v13, v11
	v_fma_f16 v10, v17, 0.5, v10
	v_mul_f16_e32 v18, 0xbaee, v1
	v_fma_f16 v5, v17, s1, v5
	v_mul_f16_e32 v1, -0.5, v1
	v_add_f16_e32 v3, v14, v4
	v_add_f16_e32 v11, v16, v10
	v_fma_f16 v18, v7, -0.5, v18
	v_add_f16_e32 v20, v15, v13
	v_add_f16_e32 v17, v6, v5
	v_fma_f16 v1, v7, s1, v1
	v_add_f16_e32 v19, v0, v18
	v_add_f16_e32 v7, v2, v1
	v_sub_f16_e32 v4, v14, v4
	v_sub_f16_e32 v13, v15, v13
	;; [unrolled: 1-line block ×3, first 2 shown]
	v_pack_b32_f16 v2, v3, v20
	v_pack_b32_f16 v3, v11, v17
	v_sub_f16_e32 v10, v16, v10
	v_sub_f16_e32 v0, v0, v18
	;; [unrolled: 1-line block ×3, first 2 shown]
	ds_write2_b32 v27, v2, v3 offset1:96
	v_pack_b32_f16 v2, v19, v7
	v_pack_b32_f16 v3, v4, v13
	ds_write2_b32 v9, v2, v3 offset0:64 offset1:160
	v_pack_b32_f16 v2, v10, v5
	v_pack_b32_f16 v0, v0, v1
	ds_write2_b32 v8, v2, v0 offset0:128 offset1:224
	s_waitcnt lgkmcnt(0)
	s_barrier
	s_and_b64 exec, exec, vcc
	s_cbranch_execz .LBB0_15
; %bb.14:
	global_load_dword v11, v27, s[6:7]
	global_load_dword v10, v27, s[6:7] offset:144
	ds_read_b32 v17, v27
	v_mad_u64_u32 v[4:5], s[0:1], s10, v12, 0
	v_mad_u64_u32 v[2:3], s[0:1], s8, v28, 0
	v_mov_b32_e32 v6, 0x7c00
	v_mad_u64_u32 v[18:19], s[0:1], s11, v12, v[5:6]
	s_waitcnt lgkmcnt(0)
	v_lshrrev_b32_e32 v5, 16, v17
	v_mad_u64_u32 v[19:20], s[0:1], s9, v28, v[3:4]
	s_mov_b32 s14, 0x1c71c71c
	s_mov_b32 s15, 0x3f5c71c7
	s_movk_i32 s18, 0x1ff
	ds_read2_b32 v[0:1], v27 offset0:36 offset1:72
	global_load_dword v13, v27, s[6:7] offset:288
	global_load_dword v14, v27, s[6:7] offset:432
	;; [unrolled: 1-line block ×4, first 2 shown]
	s_movk_i32 s17, 0xffe
	s_movk_i32 s16, 0x40f
	s_mov_b32 s10, 0x8000
	s_waitcnt lgkmcnt(0)
	v_lshrrev_b32_e32 v21, 16, v0
	ds_read_b32 v7, v27 offset:1152
	s_waitcnt vmcnt(5)
	v_mul_f16_sdwa v3, v5, v11 dst_sel:DWORD dst_unused:UNUSED_PAD src0_sel:DWORD src1_sel:WORD_1
	v_fma_f16 v3, v17, v11, v3
	v_mul_f16_sdwa v12, v17, v11 dst_sel:DWORD dst_unused:UNUSED_PAD src0_sel:DWORD src1_sel:WORD_1
	v_cvt_f32_f16_e32 v3, v3
	v_fma_f16 v5, v11, v5, -v12
	v_cvt_f32_f16_e32 v17, v5
	v_mov_b32_e32 v5, v18
	v_cvt_f64_f32_e32 v[11:12], v3
	s_waitcnt vmcnt(4)
	v_mul_f16_sdwa v3, v21, v10 dst_sel:DWORD dst_unused:UNUSED_PAD src0_sel:DWORD src1_sel:WORD_1
	v_cvt_f64_f32_e32 v[17:18], v17
	v_fma_f16 v3, v0, v10, v3
	v_mul_f64 v[11:12], v[11:12], s[14:15]
	v_cvt_f32_f16_e32 v20, v3
	v_mul_f64 v[17:18], v[17:18], s[14:15]
	v_mov_b32_e32 v3, v19
	v_lshlrev_b64 v[4:5], 2, v[4:5]
	v_cvt_f64_f32_e32 v[19:20], v20
	v_lshlrev_b64 v[2:3], 2, v[2:3]
	v_mul_f16_sdwa v0, v0, v10 dst_sel:DWORD dst_unused:UNUSED_PAD src0_sel:DWORD src1_sel:WORD_1
	v_and_or_b32 v11, v12, s18, v11
	v_cmp_ne_u32_e32 vcc, 0, v11
	v_and_or_b32 v17, v18, s18, v17
	v_lshrrev_b32_e32 v22, 8, v12
	v_bfe_u32 v23, v12, 20, 11
	v_cndmask_b32_e64 v11, 0, 1, vcc
	v_cmp_ne_u32_e32 vcc, 0, v17
	v_lshrrev_b32_e32 v24, 8, v18
	v_bfe_u32 v25, v18, 20, 11
	v_sub_u32_e32 v26, 0x3f1, v23
	v_cndmask_b32_e64 v17, 0, 1, vcc
	v_and_or_b32 v11, v22, s17, v11
	v_sub_u32_e32 v28, 0x3f1, v25
	v_med3_i32 v22, v26, 0, 13
	v_and_or_b32 v17, v24, s17, v17
	v_or_b32_e32 v26, 0x1000, v11
	v_add_u32_e32 v23, 0xfffffc10, v23
	v_med3_i32 v24, v28, 0, 13
	v_cmp_ne_u32_e32 vcc, 0, v11
	v_or_b32_e32 v29, 0x1000, v17
	v_lshrrev_b32_e32 v31, v22, v26
	v_add_u32_e32 v25, 0xfffffc10, v25
	v_lshl_or_b32 v28, v23, 12, v11
	v_cndmask_b32_e64 v11, 0, 1, vcc
	v_cmp_ne_u32_e32 vcc, 0, v17
	v_lshrrev_b32_e32 v32, v24, v29
	v_lshlrev_b32_e32 v22, v22, v31
	v_lshl_or_b32 v30, v25, 12, v17
	v_cndmask_b32_e64 v17, 0, 1, vcc
	v_lshlrev_b32_e32 v24, v24, v32
	v_cmp_ne_u32_e32 vcc, v22, v26
	v_cndmask_b32_e64 v22, 0, 1, vcc
	v_cmp_ne_u32_e32 vcc, v24, v29
	v_cndmask_b32_e64 v24, 0, 1, vcc
	v_or_b32_e32 v22, v31, v22
	v_cmp_gt_i32_e32 vcc, 1, v23
	v_cndmask_b32_e32 v22, v28, v22, vcc
	v_or_b32_e32 v24, v32, v24
	v_cmp_gt_i32_e32 vcc, 1, v25
	v_and_b32_e32 v26, 7, v22
	v_cndmask_b32_e32 v24, v30, v24, vcc
	v_cmp_lt_i32_e32 vcc, 5, v26
	v_cmp_eq_u32_e64 s[0:1], 3, v26
	v_lshrrev_b32_e32 v22, 2, v22
	v_and_b32_e32 v28, 7, v24
	s_or_b64 vcc, s[0:1], vcc
	v_cmp_lt_i32_e64 s[2:3], 5, v28
	v_cmp_eq_u32_e64 s[4:5], 3, v28
	v_addc_co_u32_e32 v22, vcc, 0, v22, vcc
	v_lshrrev_b32_e32 v24, 2, v24
	s_or_b64 vcc, s[4:5], s[2:3]
	v_addc_co_u32_e32 v24, vcc, 0, v24, vcc
	v_cmp_gt_i32_e32 vcc, 31, v23
	v_cndmask_b32_e32 v22, v6, v22, vcc
	v_cmp_gt_i32_e32 vcc, 31, v25
	v_lshl_or_b32 v11, v11, 9, v6
	v_cndmask_b32_e32 v24, v6, v24, vcc
	v_cmp_eq_u32_e32 vcc, s16, v23
	v_lshrrev_b32_e32 v12, 16, v12
	v_lshl_or_b32 v17, v17, 9, v6
	v_cndmask_b32_e32 v11, v22, v11, vcc
	v_cmp_eq_u32_e32 vcc, s16, v25
	v_lshrrev_b32_e32 v18, 16, v18
	v_cndmask_b32_e32 v17, v24, v17, vcc
	v_and_or_b32 v11, v12, s10, v11
	v_and_or_b32 v12, v18, s10, v17
	v_and_b32_e32 v11, 0xffff, v11
	v_lshl_or_b32 v17, v12, 16, v11
	v_mul_f64 v[11:12], v[19:20], s[14:15]
	v_mov_b32_e32 v18, s13
	v_add_co_u32_e32 v4, vcc, s12, v4
	v_addc_co_u32_e32 v5, vcc, v18, v5, vcc
	v_add_co_u32_e32 v2, vcc, v4, v2
	v_addc_co_u32_e32 v3, vcc, v5, v3, vcc
	v_and_or_b32 v4, v12, s18, v11
	v_cmp_ne_u32_e32 vcc, 0, v4
	v_cndmask_b32_e64 v4, 0, 1, vcc
	v_lshrrev_b32_e32 v5, 8, v12
	v_and_or_b32 v11, v5, s17, v4
	v_bfe_u32 v5, v12, 20, 11
	global_store_dword v[2:3], v17, off
	v_sub_u32_e32 v17, 0x3f1, v5
	v_or_b32_e32 v4, 0x1000, v11
	v_med3_i32 v17, v17, 0, 13
	v_lshrrev_b32_e32 v18, v17, v4
	v_lshlrev_b32_e32 v17, v17, v18
	v_cmp_ne_u32_e32 vcc, v17, v4
	v_fma_f16 v0, v10, v21, -v0
	v_cndmask_b32_e64 v4, 0, 1, vcc
	v_add_u32_e32 v17, 0xfffffc10, v5
	v_cvt_f32_f16_e32 v0, v0
	v_or_b32_e32 v4, v18, v4
	v_lshl_or_b32 v5, v17, 12, v11
	v_cmp_gt_i32_e32 vcc, 1, v17
	v_cndmask_b32_e32 v4, v5, v4, vcc
	v_and_b32_e32 v5, 7, v4
	v_cmp_lt_i32_e32 vcc, 5, v5
	v_cmp_eq_u32_e64 s[0:1], 3, v5
	v_lshrrev_b32_e32 v10, 2, v4
	v_cvt_f64_f32_e32 v[4:5], v0
	s_or_b64 vcc, s[0:1], vcc
	v_addc_co_u32_e32 v0, vcc, 0, v10, vcc
	v_mul_f64 v[4:5], v[4:5], s[14:15]
	v_cmp_gt_i32_e32 vcc, 31, v17
	v_cndmask_b32_e32 v0, v6, v0, vcc
	v_cmp_ne_u32_e32 vcc, 0, v11
	v_cndmask_b32_e64 v10, 0, 1, vcc
	v_lshl_or_b32 v10, v10, 9, v6
	v_cmp_eq_u32_e32 vcc, s16, v17
	v_cndmask_b32_e32 v0, v0, v10, vcc
	v_and_or_b32 v4, v5, s18, v4
	v_lshrrev_b32_e32 v10, 16, v12
	v_cmp_ne_u32_e32 vcc, 0, v4
	v_and_or_b32 v0, v10, s10, v0
	v_cndmask_b32_e64 v4, 0, 1, vcc
	v_lshrrev_b32_e32 v10, 8, v5
	v_bfe_u32 v11, v5, 20, 11
	v_and_or_b32 v4, v10, s17, v4
	v_sub_u32_e32 v12, 0x3f1, v11
	v_or_b32_e32 v10, 0x1000, v4
	v_med3_i32 v12, v12, 0, 13
	v_lshrrev_b32_e32 v17, v12, v10
	v_lshlrev_b32_e32 v12, v12, v17
	v_cmp_ne_u32_e32 vcc, v12, v10
	v_cndmask_b32_e64 v10, 0, 1, vcc
	v_add_u32_e32 v11, 0xfffffc10, v11
	v_or_b32_e32 v10, v17, v10
	v_lshl_or_b32 v12, v11, 12, v4
	v_cmp_gt_i32_e32 vcc, 1, v11
	v_cndmask_b32_e32 v10, v12, v10, vcc
	v_and_b32_e32 v12, 7, v10
	v_cmp_lt_i32_e32 vcc, 5, v12
	v_cmp_eq_u32_e64 s[0:1], 3, v12
	v_lshrrev_b32_e32 v10, 2, v10
	s_or_b64 vcc, s[0:1], vcc
	v_addc_co_u32_e32 v10, vcc, 0, v10, vcc
	v_cmp_gt_i32_e32 vcc, 31, v11
	v_cndmask_b32_e32 v10, v6, v10, vcc
	v_cmp_ne_u32_e32 vcc, 0, v4
	v_cndmask_b32_e64 v4, 0, 1, vcc
	v_lshl_or_b32 v4, v4, 9, v6
	v_cmp_eq_u32_e32 vcc, s16, v11
	v_cndmask_b32_e32 v4, v10, v4, vcc
	v_lshrrev_b32_e32 v10, 16, v1
	s_waitcnt vmcnt(4)
	v_mul_f16_sdwa v11, v10, v13 dst_sel:DWORD dst_unused:UNUSED_PAD src0_sel:DWORD src1_sel:WORD_1
	v_fma_f16 v11, v1, v13, v11
	v_cvt_f32_f16_e32 v11, v11
	v_lshrrev_b32_e32 v5, 16, v5
	v_and_or_b32 v4, v5, s10, v4
	v_and_b32_e32 v0, 0xffff, v0
	v_lshl_or_b32 v0, v4, 16, v0
	v_cvt_f64_f32_e32 v[4:5], v11
	s_mul_i32 s0, s9, 0x90
	s_mul_hi_u32 s2, s8, 0x90
	s_add_i32 s2, s2, s0
	v_mul_f64 v[4:5], v[4:5], s[14:15]
	s_mul_i32 s3, s8, 0x90
	v_mov_b32_e32 v11, s2
	v_add_co_u32_e32 v2, vcc, s3, v2
	v_addc_co_u32_e32 v3, vcc, v3, v11, vcc
	global_store_dword v[2:3], v0, off
	v_and_or_b32 v0, v5, s18, v4
	v_cmp_ne_u32_e32 vcc, 0, v0
	v_cndmask_b32_e64 v0, 0, 1, vcc
	v_lshrrev_b32_e32 v4, 8, v5
	v_bfe_u32 v11, v5, 20, 11
	v_and_or_b32 v4, v4, s17, v0
	v_sub_u32_e32 v12, 0x3f1, v11
	v_or_b32_e32 v0, 0x1000, v4
	v_med3_i32 v12, v12, 0, 13
	v_lshrrev_b32_e32 v17, v12, v0
	v_mul_f16_sdwa v1, v1, v13 dst_sel:DWORD dst_unused:UNUSED_PAD src0_sel:DWORD src1_sel:WORD_1
	v_lshlrev_b32_e32 v12, v12, v17
	v_fma_f16 v1, v13, v10, -v1
	v_cmp_ne_u32_e32 vcc, v12, v0
	v_cvt_f32_f16_e32 v1, v1
	v_cndmask_b32_e64 v0, 0, 1, vcc
	v_add_u32_e32 v11, 0xfffffc10, v11
	v_or_b32_e32 v0, v17, v0
	v_lshl_or_b32 v12, v11, 12, v4
	v_cmp_gt_i32_e32 vcc, 1, v11
	v_cndmask_b32_e32 v0, v12, v0, vcc
	v_and_b32_e32 v12, 7, v0
	v_lshrrev_b32_e32 v10, 2, v0
	v_cvt_f64_f32_e32 v[0:1], v1
	v_cmp_lt_i32_e32 vcc, 5, v12
	v_cmp_eq_u32_e64 s[0:1], 3, v12
	s_or_b64 vcc, s[0:1], vcc
	v_mul_f64 v[0:1], v[0:1], s[14:15]
	v_addc_co_u32_e32 v10, vcc, 0, v10, vcc
	v_cmp_gt_i32_e32 vcc, 31, v11
	v_cndmask_b32_e32 v10, v6, v10, vcc
	v_cmp_ne_u32_e32 vcc, 0, v4
	v_cndmask_b32_e64 v4, 0, 1, vcc
	v_lshl_or_b32 v4, v4, 9, v6
	v_cmp_eq_u32_e32 vcc, s16, v11
	v_and_or_b32 v0, v1, s18, v0
	v_cndmask_b32_e32 v4, v10, v4, vcc
	v_lshrrev_b32_e32 v5, 16, v5
	v_cmp_ne_u32_e32 vcc, 0, v0
	v_and_or_b32 v12, v5, s10, v4
	v_cndmask_b32_e64 v0, 0, 1, vcc
	v_lshrrev_b32_e32 v4, 8, v1
	v_bfe_u32 v5, v1, 20, 11
	v_and_or_b32 v0, v4, s17, v0
	v_sub_u32_e32 v10, 0x3f1, v5
	v_or_b32_e32 v4, 0x1000, v0
	v_med3_i32 v10, v10, 0, 13
	v_lshrrev_b32_e32 v11, v10, v4
	v_lshlrev_b32_e32 v10, v10, v11
	v_cmp_ne_u32_e32 vcc, v10, v4
	v_cndmask_b32_e64 v4, 0, 1, vcc
	v_add_u32_e32 v10, 0xfffffc10, v5
	v_or_b32_e32 v4, v11, v4
	v_lshl_or_b32 v5, v10, 12, v0
	v_cmp_gt_i32_e32 vcc, 1, v10
	v_cndmask_b32_e32 v4, v5, v4, vcc
	v_and_b32_e32 v5, 7, v4
	v_cmp_lt_i32_e32 vcc, 5, v5
	v_cmp_eq_u32_e64 s[0:1], 3, v5
	v_lshrrev_b32_e32 v4, 2, v4
	s_or_b64 vcc, s[0:1], vcc
	v_addc_co_u32_e32 v11, vcc, 0, v4, vcc
	ds_read2_b32 v[4:5], v27 offset0:108 offset1:144
	v_cmp_gt_i32_e32 vcc, 31, v10
	v_cndmask_b32_e32 v11, v6, v11, vcc
	v_cmp_ne_u32_e32 vcc, 0, v0
	v_cndmask_b32_e64 v0, 0, 1, vcc
	s_waitcnt lgkmcnt(0)
	v_lshrrev_b32_e32 v13, 16, v4
	s_waitcnt vmcnt(4)
	v_mul_f16_sdwa v17, v13, v14 dst_sel:DWORD dst_unused:UNUSED_PAD src0_sel:DWORD src1_sel:WORD_1
	v_fma_f16 v17, v4, v14, v17
	v_cvt_f32_f16_e32 v17, v17
	v_lshl_or_b32 v0, v0, 9, v6
	v_cmp_eq_u32_e32 vcc, s16, v10
	v_cndmask_b32_e32 v0, v11, v0, vcc
	v_cvt_f64_f32_e32 v[10:11], v17
	v_lshrrev_b32_e32 v1, 16, v1
	v_and_or_b32 v17, v1, s10, v0
	v_add_co_u32_e32 v2, vcc, s3, v2
	v_mul_f64 v[0:1], v[10:11], s[14:15]
	v_mov_b32_e32 v11, s2
	v_and_b32_e32 v12, 0xffff, v12
	v_addc_co_u32_e32 v3, vcc, v3, v11, vcc
	v_lshl_or_b32 v10, v17, 16, v12
	global_store_dword v[2:3], v10, off
	v_mul_f16_sdwa v4, v4, v14 dst_sel:DWORD dst_unused:UNUSED_PAD src0_sel:DWORD src1_sel:WORD_1
	v_and_or_b32 v0, v1, s18, v0
	v_cmp_ne_u32_e32 vcc, 0, v0
	v_cndmask_b32_e64 v0, 0, 1, vcc
	v_lshrrev_b32_e32 v10, 8, v1
	v_bfe_u32 v11, v1, 20, 11
	v_and_or_b32 v0, v10, s17, v0
	v_sub_u32_e32 v12, 0x3f1, v11
	v_or_b32_e32 v10, 0x1000, v0
	v_med3_i32 v12, v12, 0, 13
	v_lshrrev_b32_e32 v17, v12, v10
	v_lshlrev_b32_e32 v12, v12, v17
	v_cmp_ne_u32_e32 vcc, v12, v10
	v_fma_f16 v4, v14, v13, -v4
	v_cndmask_b32_e64 v10, 0, 1, vcc
	v_add_u32_e32 v12, 0xfffffc10, v11
	v_cvt_f32_f16_e32 v4, v4
	v_or_b32_e32 v10, v17, v10
	v_lshl_or_b32 v11, v12, 12, v0
	v_cmp_gt_i32_e32 vcc, 1, v12
	v_cndmask_b32_e32 v10, v11, v10, vcc
	v_and_b32_e32 v11, 7, v10
	v_cmp_lt_i32_e32 vcc, 5, v11
	v_cmp_eq_u32_e64 s[0:1], 3, v11
	v_lshrrev_b32_e32 v13, 2, v10
	v_cvt_f64_f32_e32 v[10:11], v4
	s_or_b64 vcc, s[0:1], vcc
	v_addc_co_u32_e32 v4, vcc, 0, v13, vcc
	v_mul_f64 v[10:11], v[10:11], s[14:15]
	v_cmp_gt_i32_e32 vcc, 31, v12
	v_cndmask_b32_e32 v4, v6, v4, vcc
	v_cmp_ne_u32_e32 vcc, 0, v0
	v_cndmask_b32_e64 v0, 0, 1, vcc
	v_lshl_or_b32 v0, v0, 9, v6
	v_cmp_eq_u32_e32 vcc, s16, v12
	v_cndmask_b32_e32 v0, v4, v0, vcc
	v_lshrrev_b32_e32 v1, 16, v1
	v_and_or_b32 v4, v1, s10, v0
	v_and_or_b32 v0, v11, s18, v10
	v_cmp_ne_u32_e32 vcc, 0, v0
	v_cndmask_b32_e64 v0, 0, 1, vcc
	v_lshrrev_b32_e32 v1, 8, v11
	v_bfe_u32 v10, v11, 20, 11
	v_and_or_b32 v0, v1, s17, v0
	v_sub_u32_e32 v12, 0x3f1, v10
	v_or_b32_e32 v1, 0x1000, v0
	v_med3_i32 v12, v12, 0, 13
	v_lshrrev_b32_e32 v13, v12, v1
	v_lshlrev_b32_e32 v12, v12, v13
	v_cmp_ne_u32_e32 vcc, v12, v1
	v_cndmask_b32_e64 v1, 0, 1, vcc
	v_add_u32_e32 v10, 0xfffffc10, v10
	v_or_b32_e32 v1, v13, v1
	v_lshl_or_b32 v12, v10, 12, v0
	v_cmp_gt_i32_e32 vcc, 1, v10
	v_cndmask_b32_e32 v1, v12, v1, vcc
	v_and_b32_e32 v12, 7, v1
	v_cmp_lt_i32_e32 vcc, 5, v12
	v_cmp_eq_u32_e64 s[0:1], 3, v12
	v_lshrrev_b32_e32 v12, 16, v5
	v_lshrrev_b32_e32 v1, 2, v1
	s_or_b64 vcc, s[0:1], vcc
	s_waitcnt vmcnt(4)
	v_mul_f16_sdwa v13, v12, v15 dst_sel:DWORD dst_unused:UNUSED_PAD src0_sel:DWORD src1_sel:WORD_1
	v_addc_co_u32_e32 v1, vcc, 0, v1, vcc
	v_fma_f16 v13, v5, v15, v13
	v_cmp_gt_i32_e32 vcc, 31, v10
	v_cvt_f32_f16_e32 v13, v13
	v_cndmask_b32_e32 v1, v6, v1, vcc
	v_cmp_ne_u32_e32 vcc, 0, v0
	v_cndmask_b32_e64 v0, 0, 1, vcc
	v_lshl_or_b32 v0, v0, 9, v6
	v_cmp_eq_u32_e32 vcc, s16, v10
	v_cndmask_b32_e32 v10, v1, v0, vcc
	v_cvt_f64_f32_e32 v[0:1], v13
	v_lshrrev_b32_e32 v11, 16, v11
	v_and_or_b32 v10, v11, s10, v10
	v_and_b32_e32 v4, 0xffff, v4
	v_mul_f64 v[0:1], v[0:1], s[14:15]
	v_lshl_or_b32 v4, v10, 16, v4
	v_mov_b32_e32 v10, s2
	v_add_co_u32_e32 v2, vcc, s3, v2
	v_addc_co_u32_e32 v3, vcc, v3, v10, vcc
	global_store_dword v[2:3], v4, off
	v_and_or_b32 v0, v1, s18, v0
	v_cmp_ne_u32_e32 vcc, 0, v0
	v_cndmask_b32_e64 v0, 0, 1, vcc
	v_lshrrev_b32_e32 v4, 8, v1
	v_bfe_u32 v10, v1, 20, 11
	v_and_or_b32 v0, v4, s17, v0
	v_sub_u32_e32 v11, 0x3f1, v10
	v_or_b32_e32 v4, 0x1000, v0
	v_med3_i32 v11, v11, 0, 13
	v_lshrrev_b32_e32 v13, v11, v4
	v_lshlrev_b32_e32 v11, v11, v13
	v_mul_f16_sdwa v5, v5, v15 dst_sel:DWORD dst_unused:UNUSED_PAD src0_sel:DWORD src1_sel:WORD_1
	v_cmp_ne_u32_e32 vcc, v11, v4
	v_fma_f16 v5, v15, v12, -v5
	v_cndmask_b32_e64 v4, 0, 1, vcc
	v_add_u32_e32 v10, 0xfffffc10, v10
	v_cvt_f32_f16_e32 v5, v5
	v_or_b32_e32 v4, v13, v4
	v_lshl_or_b32 v11, v10, 12, v0
	v_cmp_gt_i32_e32 vcc, 1, v10
	v_cndmask_b32_e32 v4, v11, v4, vcc
	v_and_b32_e32 v11, 7, v4
	v_cmp_lt_i32_e32 vcc, 5, v11
	v_cmp_eq_u32_e64 s[0:1], 3, v11
	v_lshrrev_b32_e32 v11, 2, v4
	v_cvt_f64_f32_e32 v[4:5], v5
	s_or_b64 vcc, s[0:1], vcc
	v_addc_co_u32_e32 v11, vcc, 0, v11, vcc
	v_mul_f64 v[4:5], v[4:5], s[14:15]
	v_cmp_gt_i32_e32 vcc, 31, v10
	v_cndmask_b32_e32 v11, v6, v11, vcc
	v_cmp_ne_u32_e32 vcc, 0, v0
	v_cndmask_b32_e64 v0, 0, 1, vcc
	v_lshl_or_b32 v0, v0, 9, v6
	v_cmp_eq_u32_e32 vcc, s16, v10
	v_cndmask_b32_e32 v0, v11, v0, vcc
	v_lshrrev_b32_e32 v1, 16, v1
	v_and_or_b32 v10, v1, s10, v0
	v_and_or_b32 v0, v5, s18, v4
	v_cmp_ne_u32_e32 vcc, 0, v0
	v_cndmask_b32_e64 v0, 0, 1, vcc
	v_lshrrev_b32_e32 v1, 8, v5
	v_and_or_b32 v4, v1, s17, v0
	v_bfe_u32 v1, v5, 20, 11
	v_sub_u32_e32 v11, 0x3f1, v1
	v_or_b32_e32 v0, 0x1000, v4
	v_med3_i32 v11, v11, 0, 13
	v_lshrrev_b32_e32 v12, v11, v0
	v_lshlrev_b32_e32 v11, v11, v12
	v_cmp_ne_u32_e32 vcc, v11, v0
	v_cndmask_b32_e64 v0, 0, 1, vcc
	v_add_u32_e32 v11, 0xfffffc10, v1
	v_or_b32_e32 v0, v12, v0
	v_lshl_or_b32 v1, v11, 12, v4
	v_cmp_gt_i32_e32 vcc, 1, v11
	v_cndmask_b32_e32 v0, v1, v0, vcc
	v_and_b32_e32 v1, 7, v0
	v_cmp_lt_i32_e32 vcc, 5, v1
	v_cmp_eq_u32_e64 s[0:1], 3, v1
	v_lshrrev_b32_e32 v0, 2, v0
	s_or_b64 vcc, s[0:1], vcc
	v_addc_co_u32_e32 v12, vcc, 0, v0, vcc
	v_cmp_gt_i32_e32 vcc, 31, v11
	v_cndmask_b32_e32 v12, v6, v12, vcc
	v_cmp_ne_u32_e32 vcc, 0, v4
	v_cndmask_b32_e64 v4, 0, 1, vcc
	v_lshl_or_b32 v4, v4, 9, v6
	v_cmp_eq_u32_e32 vcc, s16, v11
	v_cndmask_b32_e32 v11, v12, v4, vcc
	v_lshrrev_b32_e32 v12, 16, v5
	v_and_or_b32 v11, v12, s10, v11
	global_load_dword v12, v27, s[6:7] offset:864
	ds_read2_b32 v[0:1], v27 offset0:180 offset1:216
	v_and_b32_e32 v10, 0xffff, v10
	v_lshl_or_b32 v10, v11, 16, v10
	v_mov_b32_e32 v11, s2
	v_add_co_u32_e32 v2, vcc, s3, v2
	s_waitcnt lgkmcnt(0)
	v_lshrrev_b32_e32 v13, 16, v0
	s_waitcnt vmcnt(5)
	v_mul_f16_sdwa v14, v13, v16 dst_sel:DWORD dst_unused:UNUSED_PAD src0_sel:DWORD src1_sel:WORD_1
	v_fma_f16 v14, v0, v16, v14
	v_cvt_f32_f16_e32 v14, v14
	v_addc_co_u32_e32 v3, vcc, v3, v11, vcc
	global_store_dword v[2:3], v10, off
	v_cvt_f64_f32_e32 v[4:5], v14
	v_mul_f16_sdwa v0, v0, v16 dst_sel:DWORD dst_unused:UNUSED_PAD src0_sel:DWORD src1_sel:WORD_1
	v_fma_f16 v0, v16, v13, -v0
	v_cvt_f32_f16_e32 v0, v0
	v_mul_f64 v[4:5], v[4:5], s[14:15]
	v_and_or_b32 v4, v5, s18, v4
	v_cmp_ne_u32_e32 vcc, 0, v4
	v_cndmask_b32_e64 v4, 0, 1, vcc
	v_lshrrev_b32_e32 v10, 8, v5
	v_bfe_u32 v11, v5, 20, 11
	v_and_or_b32 v4, v10, s17, v4
	v_sub_u32_e32 v14, 0x3f1, v11
	v_or_b32_e32 v10, 0x1000, v4
	v_med3_i32 v14, v14, 0, 13
	v_lshrrev_b32_e32 v15, v14, v10
	v_lshlrev_b32_e32 v14, v14, v15
	v_cmp_ne_u32_e32 vcc, v14, v10
	v_cndmask_b32_e64 v10, 0, 1, vcc
	v_add_u32_e32 v14, 0xfffffc10, v11
	v_or_b32_e32 v10, v15, v10
	v_lshl_or_b32 v11, v14, 12, v4
	v_cmp_gt_i32_e32 vcc, 1, v14
	v_cndmask_b32_e32 v10, v11, v10, vcc
	v_and_b32_e32 v11, 7, v10
	v_cmp_lt_i32_e32 vcc, 5, v11
	v_cmp_eq_u32_e64 s[0:1], 3, v11
	v_lshrrev_b32_e32 v13, 2, v10
	v_cvt_f64_f32_e32 v[10:11], v0
	s_or_b64 vcc, s[0:1], vcc
	v_addc_co_u32_e32 v0, vcc, 0, v13, vcc
	v_mul_f64 v[10:11], v[10:11], s[14:15]
	v_cmp_gt_i32_e32 vcc, 31, v14
	v_cndmask_b32_e32 v0, v6, v0, vcc
	v_cmp_ne_u32_e32 vcc, 0, v4
	v_cndmask_b32_e64 v4, 0, 1, vcc
	v_lshl_or_b32 v4, v4, 9, v6
	v_cmp_eq_u32_e32 vcc, s16, v14
	v_cndmask_b32_e32 v0, v0, v4, vcc
	v_lshrrev_b32_e32 v4, 16, v5
	v_and_or_b32 v0, v4, s10, v0
	v_and_or_b32 v4, v11, s18, v10
	v_cmp_ne_u32_e32 vcc, 0, v4
	v_cndmask_b32_e64 v4, 0, 1, vcc
	v_lshrrev_b32_e32 v5, 8, v11
	v_bfe_u32 v10, v11, 20, 11
	v_and_or_b32 v4, v5, s17, v4
	v_sub_u32_e32 v13, 0x3f1, v10
	v_or_b32_e32 v5, 0x1000, v4
	v_med3_i32 v13, v13, 0, 13
	v_lshrrev_b32_e32 v14, v13, v5
	v_lshlrev_b32_e32 v13, v13, v14
	v_cmp_ne_u32_e32 vcc, v13, v5
	v_cndmask_b32_e64 v5, 0, 1, vcc
	v_or_b32_e32 v5, v14, v5
	global_load_dword v14, v27, s[6:7] offset:1008
	global_load_dword v15, v27, s[6:7] offset:1152
	;; [unrolled: 1-line block ×5, first 2 shown]
	v_add_u32_e32 v10, 0xfffffc10, v10
	v_lshl_or_b32 v13, v10, 12, v4
	v_cmp_gt_i32_e32 vcc, 1, v10
	v_cndmask_b32_e32 v5, v13, v5, vcc
	v_and_b32_e32 v13, 7, v5
	v_cmp_lt_i32_e32 vcc, 5, v13
	v_cmp_eq_u32_e64 s[0:1], 3, v13
	v_lshrrev_b32_e32 v13, 16, v1
	v_lshrrev_b32_e32 v5, 2, v5
	s_or_b64 vcc, s[0:1], vcc
	s_waitcnt vmcnt(6)
	v_mul_f16_sdwa v19, v13, v12 dst_sel:DWORD dst_unused:UNUSED_PAD src0_sel:DWORD src1_sel:WORD_1
	v_addc_co_u32_e32 v5, vcc, 0, v5, vcc
	v_fma_f16 v19, v1, v12, v19
	v_cmp_gt_i32_e32 vcc, 31, v10
	v_cvt_f32_f16_e32 v19, v19
	v_cndmask_b32_e32 v5, v6, v5, vcc
	v_cmp_ne_u32_e32 vcc, 0, v4
	v_cndmask_b32_e64 v4, 0, 1, vcc
	v_lshl_or_b32 v4, v4, 9, v6
	v_cmp_eq_u32_e32 vcc, s16, v10
	v_cndmask_b32_e32 v10, v5, v4, vcc
	v_cvt_f64_f32_e32 v[4:5], v19
	v_lshrrev_b32_e32 v11, 16, v11
	v_and_or_b32 v10, v11, s10, v10
	v_and_b32_e32 v0, 0xffff, v0
	v_mul_f64 v[4:5], v[4:5], s[14:15]
	v_lshl_or_b32 v0, v10, 16, v0
	v_mov_b32_e32 v10, s2
	v_add_co_u32_e32 v2, vcc, s3, v2
	v_addc_co_u32_e32 v3, vcc, v3, v10, vcc
	global_store_dword v[2:3], v0, off
	v_and_or_b32 v0, v5, s18, v4
	v_cmp_ne_u32_e32 vcc, 0, v0
	v_cndmask_b32_e64 v0, 0, 1, vcc
	v_lshrrev_b32_e32 v4, 8, v5
	v_bfe_u32 v10, v5, 20, 11
	v_and_or_b32 v4, v4, s17, v0
	v_sub_u32_e32 v11, 0x3f1, v10
	v_or_b32_e32 v0, 0x1000, v4
	v_med3_i32 v11, v11, 0, 13
	v_lshrrev_b32_e32 v19, v11, v0
	v_lshlrev_b32_e32 v11, v11, v19
	v_mul_f16_sdwa v1, v1, v12 dst_sel:DWORD dst_unused:UNUSED_PAD src0_sel:DWORD src1_sel:WORD_1
	v_cmp_ne_u32_e32 vcc, v11, v0
	v_fma_f16 v1, v12, v13, -v1
	v_cndmask_b32_e64 v0, 0, 1, vcc
	v_add_u32_e32 v10, 0xfffffc10, v10
	v_cvt_f32_f16_e32 v1, v1
	v_or_b32_e32 v0, v19, v0
	v_lshl_or_b32 v11, v10, 12, v4
	v_cmp_gt_i32_e32 vcc, 1, v10
	v_cndmask_b32_e32 v0, v11, v0, vcc
	v_and_b32_e32 v11, 7, v0
	v_cmp_lt_i32_e32 vcc, 5, v11
	v_cmp_eq_u32_e64 s[0:1], 3, v11
	v_lshrrev_b32_e32 v11, 2, v0
	v_cvt_f64_f32_e32 v[0:1], v1
	s_or_b64 vcc, s[0:1], vcc
	v_addc_co_u32_e32 v11, vcc, 0, v11, vcc
	v_mul_f64 v[0:1], v[0:1], s[14:15]
	v_cmp_gt_i32_e32 vcc, 31, v10
	v_cndmask_b32_e32 v11, v6, v11, vcc
	v_cmp_ne_u32_e32 vcc, 0, v4
	v_cndmask_b32_e64 v4, 0, 1, vcc
	v_lshl_or_b32 v4, v4, 9, v6
	v_cmp_eq_u32_e32 vcc, s16, v10
	v_cndmask_b32_e32 v4, v11, v4, vcc
	v_and_or_b32 v0, v1, s18, v0
	v_lshrrev_b32_e32 v5, 16, v5
	v_cmp_ne_u32_e32 vcc, 0, v0
	v_and_or_b32 v11, v5, s10, v4
	v_cndmask_b32_e64 v0, 0, 1, vcc
	v_lshrrev_b32_e32 v4, 8, v1
	v_bfe_u32 v5, v1, 20, 11
	v_and_or_b32 v0, v4, s17, v0
	v_sub_u32_e32 v10, 0x3f1, v5
	v_or_b32_e32 v4, 0x1000, v0
	v_med3_i32 v10, v10, 0, 13
	v_lshrrev_b32_e32 v12, v10, v4
	v_lshlrev_b32_e32 v10, v10, v12
	v_cmp_ne_u32_e32 vcc, v10, v4
	v_cndmask_b32_e64 v4, 0, 1, vcc
	v_add_u32_e32 v10, 0xfffffc10, v5
	v_or_b32_e32 v4, v12, v4
	v_lshl_or_b32 v5, v10, 12, v0
	v_cmp_gt_i32_e32 vcc, 1, v10
	v_cndmask_b32_e32 v4, v5, v4, vcc
	v_and_b32_e32 v5, 7, v4
	v_cmp_lt_i32_e32 vcc, 5, v5
	v_cmp_eq_u32_e64 s[0:1], 3, v5
	v_lshrrev_b32_e32 v4, 2, v4
	s_or_b64 vcc, s[0:1], vcc
	v_addc_co_u32_e32 v12, vcc, 0, v4, vcc
	ds_read2_b32 v[4:5], v9 offset0:124 offset1:196
	v_cmp_gt_i32_e32 vcc, 31, v10
	v_cndmask_b32_e32 v9, v6, v12, vcc
	v_cmp_ne_u32_e32 vcc, 0, v0
	v_cndmask_b32_e64 v0, 0, 1, vcc
	s_waitcnt lgkmcnt(0)
	v_lshrrev_b32_e32 v12, 16, v4
	s_waitcnt vmcnt(5)
	v_mul_f16_sdwa v13, v12, v14 dst_sel:DWORD dst_unused:UNUSED_PAD src0_sel:DWORD src1_sel:WORD_1
	v_fma_f16 v13, v4, v14, v13
	v_cvt_f32_f16_e32 v13, v13
	v_lshl_or_b32 v0, v0, 9, v6
	v_cmp_eq_u32_e32 vcc, s16, v10
	v_cndmask_b32_e32 v0, v9, v0, vcc
	v_cvt_f64_f32_e32 v[9:10], v13
	v_lshrrev_b32_e32 v1, 16, v1
	v_and_or_b32 v13, v1, s10, v0
	v_add_co_u32_e32 v2, vcc, s3, v2
	v_mul_f64 v[0:1], v[9:10], s[14:15]
	v_mov_b32_e32 v10, s2
	v_and_b32_e32 v11, 0xffff, v11
	v_addc_co_u32_e32 v3, vcc, v3, v10, vcc
	v_lshl_or_b32 v9, v13, 16, v11
	global_store_dword v[2:3], v9, off
	v_mul_f16_sdwa v4, v4, v14 dst_sel:DWORD dst_unused:UNUSED_PAD src0_sel:DWORD src1_sel:WORD_1
	v_and_or_b32 v0, v1, s18, v0
	v_cmp_ne_u32_e32 vcc, 0, v0
	v_cndmask_b32_e64 v0, 0, 1, vcc
	v_lshrrev_b32_e32 v9, 8, v1
	v_bfe_u32 v10, v1, 20, 11
	v_and_or_b32 v0, v9, s17, v0
	v_sub_u32_e32 v11, 0x3f1, v10
	v_or_b32_e32 v9, 0x1000, v0
	v_med3_i32 v11, v11, 0, 13
	v_lshrrev_b32_e32 v13, v11, v9
	v_lshlrev_b32_e32 v11, v11, v13
	v_cmp_ne_u32_e32 vcc, v11, v9
	v_fma_f16 v4, v14, v12, -v4
	v_cndmask_b32_e64 v9, 0, 1, vcc
	v_add_u32_e32 v11, 0xfffffc10, v10
	v_cvt_f32_f16_e32 v4, v4
	v_or_b32_e32 v9, v13, v9
	v_lshl_or_b32 v10, v11, 12, v0
	v_cmp_gt_i32_e32 vcc, 1, v11
	v_cndmask_b32_e32 v9, v10, v9, vcc
	v_and_b32_e32 v10, 7, v9
	v_cmp_lt_i32_e32 vcc, 5, v10
	v_cmp_eq_u32_e64 s[0:1], 3, v10
	v_lshrrev_b32_e32 v12, 2, v9
	v_cvt_f64_f32_e32 v[9:10], v4
	s_or_b64 vcc, s[0:1], vcc
	v_addc_co_u32_e32 v4, vcc, 0, v12, vcc
	v_mul_f64 v[9:10], v[9:10], s[14:15]
	v_cmp_gt_i32_e32 vcc, 31, v11
	v_cndmask_b32_e32 v4, v6, v4, vcc
	v_cmp_ne_u32_e32 vcc, 0, v0
	v_cndmask_b32_e64 v0, 0, 1, vcc
	v_lshl_or_b32 v0, v0, 9, v6
	v_cmp_eq_u32_e32 vcc, s16, v11
	v_cndmask_b32_e32 v0, v4, v0, vcc
	v_lshrrev_b32_e32 v1, 16, v1
	v_and_or_b32 v4, v1, s10, v0
	v_and_or_b32 v0, v10, s18, v9
	v_cmp_ne_u32_e32 vcc, 0, v0
	v_cndmask_b32_e64 v0, 0, 1, vcc
	v_lshrrev_b32_e32 v1, 8, v10
	v_bfe_u32 v9, v10, 20, 11
	v_and_or_b32 v0, v1, s17, v0
	v_sub_u32_e32 v11, 0x3f1, v9
	v_or_b32_e32 v1, 0x1000, v0
	v_med3_i32 v11, v11, 0, 13
	v_lshrrev_b32_e32 v12, v11, v1
	v_lshlrev_b32_e32 v11, v11, v12
	v_cmp_ne_u32_e32 vcc, v11, v1
	v_cndmask_b32_e64 v1, 0, 1, vcc
	v_add_u32_e32 v9, 0xfffffc10, v9
	v_or_b32_e32 v1, v12, v1
	v_lshl_or_b32 v11, v9, 12, v0
	v_cmp_gt_i32_e32 vcc, 1, v9
	v_cndmask_b32_e32 v1, v11, v1, vcc
	v_and_b32_e32 v11, 7, v1
	v_cmp_lt_i32_e32 vcc, 5, v11
	v_cmp_eq_u32_e64 s[0:1], 3, v11
	v_lshrrev_b32_e32 v11, 16, v7
	v_lshrrev_b32_e32 v1, 2, v1
	s_or_b64 vcc, s[0:1], vcc
	s_waitcnt vmcnt(5)
	v_mul_f16_sdwa v12, v11, v15 dst_sel:DWORD dst_unused:UNUSED_PAD src0_sel:DWORD src1_sel:WORD_1
	v_addc_co_u32_e32 v1, vcc, 0, v1, vcc
	v_fma_f16 v12, v7, v15, v12
	v_cmp_gt_i32_e32 vcc, 31, v9
	v_cvt_f32_f16_e32 v12, v12
	v_cndmask_b32_e32 v1, v6, v1, vcc
	v_cmp_ne_u32_e32 vcc, 0, v0
	v_cndmask_b32_e64 v0, 0, 1, vcc
	v_lshl_or_b32 v0, v0, 9, v6
	v_cmp_eq_u32_e32 vcc, s16, v9
	v_cndmask_b32_e32 v9, v1, v0, vcc
	v_cvt_f64_f32_e32 v[0:1], v12
	v_lshrrev_b32_e32 v10, 16, v10
	v_and_or_b32 v9, v10, s10, v9
	v_and_b32_e32 v4, 0xffff, v4
	v_mul_f64 v[0:1], v[0:1], s[14:15]
	v_lshl_or_b32 v4, v9, 16, v4
	v_mov_b32_e32 v9, s2
	v_add_co_u32_e32 v2, vcc, s3, v2
	v_addc_co_u32_e32 v3, vcc, v3, v9, vcc
	global_store_dword v[2:3], v4, off
	v_and_or_b32 v0, v1, s18, v0
	v_cmp_ne_u32_e32 vcc, 0, v0
	v_cndmask_b32_e64 v0, 0, 1, vcc
	v_lshrrev_b32_e32 v4, 8, v1
	v_bfe_u32 v9, v1, 20, 11
	v_and_or_b32 v0, v4, s17, v0
	v_sub_u32_e32 v10, 0x3f1, v9
	v_or_b32_e32 v4, 0x1000, v0
	v_med3_i32 v10, v10, 0, 13
	v_lshrrev_b32_e32 v12, v10, v4
	v_lshlrev_b32_e32 v10, v10, v12
	v_cmp_ne_u32_e32 vcc, v10, v4
	v_mul_f16_sdwa v7, v7, v15 dst_sel:DWORD dst_unused:UNUSED_PAD src0_sel:DWORD src1_sel:WORD_1
	v_cndmask_b32_e64 v4, 0, 1, vcc
	v_fma_f16 v7, v15, v11, -v7
	v_or_b32_e32 v4, v12, v4
	v_add_u32_e32 v12, 0xfffffc10, v9
	v_cvt_f32_f16_e32 v7, v7
	v_lshl_or_b32 v9, v12, 12, v0
	v_cmp_gt_i32_e32 vcc, 1, v12
	v_cndmask_b32_e32 v4, v9, v4, vcc
	v_and_b32_e32 v9, 7, v4
	v_cmp_lt_i32_e32 vcc, 5, v9
	v_cmp_eq_u32_e64 s[0:1], 3, v9
	v_cvt_f64_f32_e32 v[9:10], v7
	v_lshrrev_b32_e32 v4, 2, v4
	s_or_b64 vcc, s[0:1], vcc
	v_addc_co_u32_e32 v4, vcc, 0, v4, vcc
	v_mul_f64 v[9:10], v[9:10], s[14:15]
	v_cmp_gt_i32_e32 vcc, 31, v12
	v_cndmask_b32_e32 v4, v6, v4, vcc
	v_cmp_ne_u32_e32 vcc, 0, v0
	v_cndmask_b32_e64 v0, 0, 1, vcc
	v_lshl_or_b32 v0, v0, 9, v6
	v_cmp_eq_u32_e32 vcc, s16, v12
	v_cndmask_b32_e32 v0, v4, v0, vcc
	v_lshrrev_b32_e32 v1, 16, v1
	v_and_or_b32 v4, v1, s10, v0
	v_and_or_b32 v0, v10, s18, v9
	v_cmp_ne_u32_e32 vcc, 0, v0
	v_cndmask_b32_e64 v0, 0, 1, vcc
	v_lshrrev_b32_e32 v1, 8, v10
	v_bfe_u32 v7, v10, 20, 11
	v_and_or_b32 v0, v1, s17, v0
	v_sub_u32_e32 v9, 0x3f1, v7
	v_or_b32_e32 v1, 0x1000, v0
	v_med3_i32 v9, v9, 0, 13
	v_lshrrev_b32_e32 v11, v9, v1
	v_lshlrev_b32_e32 v9, v9, v11
	v_cmp_ne_u32_e32 vcc, v9, v1
	v_cndmask_b32_e64 v1, 0, 1, vcc
	v_add_u32_e32 v7, 0xfffffc10, v7
	v_or_b32_e32 v1, v11, v1
	v_lshl_or_b32 v9, v7, 12, v0
	v_cmp_gt_i32_e32 vcc, 1, v7
	v_cndmask_b32_e32 v1, v9, v1, vcc
	v_and_b32_e32 v9, 7, v1
	v_cmp_lt_i32_e32 vcc, 5, v9
	v_cmp_eq_u32_e64 s[0:1], 3, v9
	v_lshrrev_b32_e32 v9, 16, v5
	v_lshrrev_b32_e32 v1, 2, v1
	s_or_b64 vcc, s[0:1], vcc
	s_waitcnt vmcnt(5)
	v_mul_f16_sdwa v11, v9, v16 dst_sel:DWORD dst_unused:UNUSED_PAD src0_sel:DWORD src1_sel:WORD_1
	v_addc_co_u32_e32 v1, vcc, 0, v1, vcc
	v_fma_f16 v11, v5, v16, v11
	v_cmp_gt_i32_e32 vcc, 31, v7
	v_cvt_f32_f16_e32 v11, v11
	v_cndmask_b32_e32 v1, v6, v1, vcc
	v_cmp_ne_u32_e32 vcc, 0, v0
	v_cndmask_b32_e64 v0, 0, 1, vcc
	v_lshl_or_b32 v0, v0, 9, v6
	v_cmp_eq_u32_e32 vcc, s16, v7
	v_cndmask_b32_e32 v7, v1, v0, vcc
	v_cvt_f64_f32_e32 v[0:1], v11
	v_lshrrev_b32_e32 v10, 16, v10
	v_and_or_b32 v7, v10, s10, v7
	v_and_b32_e32 v4, 0xffff, v4
	v_mul_f64 v[0:1], v[0:1], s[14:15]
	v_lshl_or_b32 v4, v7, 16, v4
	v_mov_b32_e32 v7, s2
	v_add_co_u32_e32 v2, vcc, s3, v2
	v_addc_co_u32_e32 v3, vcc, v3, v7, vcc
	global_store_dword v[2:3], v4, off
	v_and_or_b32 v0, v1, s18, v0
	v_cmp_ne_u32_e32 vcc, 0, v0
	v_cndmask_b32_e64 v0, 0, 1, vcc
	v_lshrrev_b32_e32 v4, 8, v1
	v_bfe_u32 v7, v1, 20, 11
	v_and_or_b32 v0, v4, s17, v0
	v_sub_u32_e32 v10, 0x3f1, v7
	v_or_b32_e32 v4, 0x1000, v0
	v_med3_i32 v10, v10, 0, 13
	v_lshrrev_b32_e32 v11, v10, v4
	v_mul_f16_sdwa v5, v5, v16 dst_sel:DWORD dst_unused:UNUSED_PAD src0_sel:DWORD src1_sel:WORD_1
	v_lshlrev_b32_e32 v10, v10, v11
	v_fma_f16 v5, v16, v9, -v5
	v_cmp_ne_u32_e32 vcc, v10, v4
	v_cvt_f32_f16_e32 v5, v5
	v_cndmask_b32_e64 v4, 0, 1, vcc
	v_add_u32_e32 v7, 0xfffffc10, v7
	v_or_b32_e32 v4, v11, v4
	v_lshl_or_b32 v10, v7, 12, v0
	v_cmp_gt_i32_e32 vcc, 1, v7
	v_cndmask_b32_e32 v4, v10, v4, vcc
	v_and_b32_e32 v10, 7, v4
	v_lshrrev_b32_e32 v9, 2, v4
	v_cvt_f64_f32_e32 v[4:5], v5
	v_cmp_lt_i32_e32 vcc, 5, v10
	v_cmp_eq_u32_e64 s[0:1], 3, v10
	s_or_b64 vcc, s[0:1], vcc
	v_mul_f64 v[4:5], v[4:5], s[14:15]
	v_addc_co_u32_e32 v9, vcc, 0, v9, vcc
	v_cmp_gt_i32_e32 vcc, 31, v7
	v_cndmask_b32_e32 v9, v6, v9, vcc
	v_cmp_ne_u32_e32 vcc, 0, v0
	v_cndmask_b32_e64 v0, 0, 1, vcc
	v_lshl_or_b32 v0, v0, 9, v6
	v_cmp_eq_u32_e32 vcc, s16, v7
	v_cndmask_b32_e32 v0, v9, v0, vcc
	v_lshrrev_b32_e32 v1, 16, v1
	v_and_or_b32 v7, v1, s10, v0
	v_and_or_b32 v0, v5, s18, v4
	v_cmp_ne_u32_e32 vcc, 0, v0
	v_cndmask_b32_e64 v0, 0, 1, vcc
	v_lshrrev_b32_e32 v1, 8, v5
	v_and_or_b32 v4, v1, s17, v0
	v_bfe_u32 v1, v5, 20, 11
	v_sub_u32_e32 v9, 0x3f1, v1
	v_or_b32_e32 v0, 0x1000, v4
	v_med3_i32 v9, v9, 0, 13
	v_lshrrev_b32_e32 v10, v9, v0
	v_lshlrev_b32_e32 v9, v9, v10
	v_cmp_ne_u32_e32 vcc, v9, v0
	v_cndmask_b32_e64 v0, 0, 1, vcc
	v_add_u32_e32 v9, 0xfffffc10, v1
	v_or_b32_e32 v0, v10, v0
	v_lshl_or_b32 v1, v9, 12, v4
	v_cmp_gt_i32_e32 vcc, 1, v9
	v_cndmask_b32_e32 v0, v1, v0, vcc
	v_and_b32_e32 v1, 7, v0
	v_cmp_lt_i32_e32 vcc, 5, v1
	v_cmp_eq_u32_e64 s[0:1], 3, v1
	v_lshrrev_b32_e32 v0, 2, v0
	s_or_b64 vcc, s[0:1], vcc
	v_addc_co_u32_e32 v10, vcc, 0, v0, vcc
	ds_read2_b32 v[0:1], v8 offset0:104 offset1:140
	v_cmp_gt_i32_e32 vcc, 31, v9
	v_cndmask_b32_e32 v10, v6, v10, vcc
	v_cmp_ne_u32_e32 vcc, 0, v4
	v_cndmask_b32_e64 v4, 0, 1, vcc
	s_waitcnt lgkmcnt(0)
	v_lshrrev_b32_e32 v11, 16, v0
	s_waitcnt vmcnt(5)
	v_mul_f16_sdwa v12, v11, v17 dst_sel:DWORD dst_unused:UNUSED_PAD src0_sel:DWORD src1_sel:WORD_1
	v_fma_f16 v12, v0, v17, v12
	v_cvt_f32_f16_e32 v12, v12
	v_lshl_or_b32 v4, v4, 9, v6
	v_cmp_eq_u32_e32 vcc, s16, v9
	v_cndmask_b32_e32 v4, v10, v4, vcc
	v_cvt_f64_f32_e32 v[9:10], v12
	v_lshrrev_b32_e32 v5, 16, v5
	v_and_or_b32 v12, v5, s10, v4
	v_add_co_u32_e32 v2, vcc, s3, v2
	v_mul_f64 v[4:5], v[9:10], s[14:15]
	v_mov_b32_e32 v9, s2
	v_and_b32_e32 v7, 0xffff, v7
	v_addc_co_u32_e32 v3, vcc, v3, v9, vcc
	v_lshl_or_b32 v7, v12, 16, v7
	global_store_dword v[2:3], v7, off
	v_mul_f16_sdwa v0, v0, v17 dst_sel:DWORD dst_unused:UNUSED_PAD src0_sel:DWORD src1_sel:WORD_1
	v_and_or_b32 v4, v5, s18, v4
	v_cmp_ne_u32_e32 vcc, 0, v4
	v_cndmask_b32_e64 v4, 0, 1, vcc
	v_lshrrev_b32_e32 v7, 8, v5
	v_bfe_u32 v9, v5, 20, 11
	v_and_or_b32 v4, v7, s17, v4
	v_sub_u32_e32 v10, 0x3f1, v9
	v_or_b32_e32 v7, 0x1000, v4
	v_med3_i32 v10, v10, 0, 13
	v_lshrrev_b32_e32 v12, v10, v7
	v_lshlrev_b32_e32 v10, v10, v12
	v_cmp_ne_u32_e32 vcc, v10, v7
	v_cndmask_b32_e64 v7, 0, 1, vcc
	v_fma_f16 v0, v17, v11, -v0
	v_or_b32_e32 v7, v12, v7
	v_add_u32_e32 v12, 0xfffffc10, v9
	v_cvt_f32_f16_e32 v0, v0
	v_lshl_or_b32 v9, v12, 12, v4
	v_cmp_gt_i32_e32 vcc, 1, v12
	v_cndmask_b32_e32 v7, v9, v7, vcc
	v_and_b32_e32 v9, 7, v7
	v_cmp_lt_i32_e32 vcc, 5, v9
	v_cmp_eq_u32_e64 s[0:1], 3, v9
	v_cvt_f64_f32_e32 v[9:10], v0
	v_lshrrev_b32_e32 v7, 2, v7
	s_or_b64 vcc, s[0:1], vcc
	v_addc_co_u32_e32 v0, vcc, 0, v7, vcc
	v_mul_f64 v[9:10], v[9:10], s[14:15]
	v_cmp_gt_i32_e32 vcc, 31, v12
	v_cndmask_b32_e32 v0, v6, v0, vcc
	v_cmp_ne_u32_e32 vcc, 0, v4
	v_cndmask_b32_e64 v4, 0, 1, vcc
	v_lshl_or_b32 v4, v4, 9, v6
	v_cmp_eq_u32_e32 vcc, s16, v12
	v_cndmask_b32_e32 v0, v0, v4, vcc
	v_lshrrev_b32_e32 v4, 16, v5
	v_and_or_b32 v0, v4, s10, v0
	v_and_or_b32 v4, v10, s18, v9
	v_cmp_ne_u32_e32 vcc, 0, v4
	v_cndmask_b32_e64 v4, 0, 1, vcc
	v_lshrrev_b32_e32 v5, 8, v10
	v_bfe_u32 v7, v10, 20, 11
	v_and_or_b32 v4, v5, s17, v4
	v_sub_u32_e32 v9, 0x3f1, v7
	v_or_b32_e32 v5, 0x1000, v4
	v_med3_i32 v9, v9, 0, 13
	v_lshrrev_b32_e32 v11, v9, v5
	v_lshlrev_b32_e32 v9, v9, v11
	v_cmp_ne_u32_e32 vcc, v9, v5
	v_cndmask_b32_e64 v5, 0, 1, vcc
	v_add_u32_e32 v7, 0xfffffc10, v7
	v_or_b32_e32 v5, v11, v5
	v_lshl_or_b32 v9, v7, 12, v4
	v_cmp_gt_i32_e32 vcc, 1, v7
	v_cndmask_b32_e32 v5, v9, v5, vcc
	v_and_b32_e32 v9, 7, v5
	v_cmp_lt_i32_e32 vcc, 5, v9
	v_cmp_eq_u32_e64 s[0:1], 3, v9
	v_lshrrev_b32_e32 v9, 16, v1
	v_lshrrev_b32_e32 v5, 2, v5
	s_or_b64 vcc, s[0:1], vcc
	s_waitcnt vmcnt(5)
	v_mul_f16_sdwa v11, v9, v18 dst_sel:DWORD dst_unused:UNUSED_PAD src0_sel:DWORD src1_sel:WORD_1
	v_addc_co_u32_e32 v5, vcc, 0, v5, vcc
	v_fma_f16 v11, v1, v18, v11
	v_cmp_gt_i32_e32 vcc, 31, v7
	v_cvt_f32_f16_e32 v11, v11
	v_cndmask_b32_e32 v5, v6, v5, vcc
	v_cmp_ne_u32_e32 vcc, 0, v4
	v_cndmask_b32_e64 v4, 0, 1, vcc
	v_lshl_or_b32 v4, v4, 9, v6
	v_cmp_eq_u32_e32 vcc, s16, v7
	v_cndmask_b32_e32 v7, v5, v4, vcc
	v_cvt_f64_f32_e32 v[4:5], v11
	v_lshrrev_b32_e32 v10, 16, v10
	v_and_or_b32 v7, v10, s10, v7
	v_and_b32_e32 v0, 0xffff, v0
	v_mul_f64 v[4:5], v[4:5], s[14:15]
	v_lshl_or_b32 v0, v7, 16, v0
	v_mov_b32_e32 v7, s2
	v_add_co_u32_e32 v2, vcc, s3, v2
	v_addc_co_u32_e32 v3, vcc, v3, v7, vcc
	global_store_dword v[2:3], v0, off
	v_and_or_b32 v0, v5, s18, v4
	v_cmp_ne_u32_e32 vcc, 0, v0
	v_cndmask_b32_e64 v0, 0, 1, vcc
	v_lshrrev_b32_e32 v4, 8, v5
	v_bfe_u32 v7, v5, 20, 11
	v_and_or_b32 v4, v4, s17, v0
	v_sub_u32_e32 v10, 0x3f1, v7
	v_or_b32_e32 v0, 0x1000, v4
	v_med3_i32 v10, v10, 0, 13
	v_lshrrev_b32_e32 v11, v10, v0
	v_mul_f16_sdwa v1, v1, v18 dst_sel:DWORD dst_unused:UNUSED_PAD src0_sel:DWORD src1_sel:WORD_1
	v_lshlrev_b32_e32 v10, v10, v11
	v_fma_f16 v1, v18, v9, -v1
	v_cmp_ne_u32_e32 vcc, v10, v0
	v_cvt_f32_f16_e32 v1, v1
	v_cndmask_b32_e64 v0, 0, 1, vcc
	v_add_u32_e32 v7, 0xfffffc10, v7
	v_or_b32_e32 v0, v11, v0
	v_lshl_or_b32 v10, v7, 12, v4
	v_cmp_gt_i32_e32 vcc, 1, v7
	v_cndmask_b32_e32 v0, v10, v0, vcc
	v_and_b32_e32 v10, 7, v0
	v_lshrrev_b32_e32 v9, 2, v0
	v_cvt_f64_f32_e32 v[0:1], v1
	v_cmp_lt_i32_e32 vcc, 5, v10
	v_cmp_eq_u32_e64 s[0:1], 3, v10
	s_or_b64 vcc, s[0:1], vcc
	v_mul_f64 v[0:1], v[0:1], s[14:15]
	v_addc_co_u32_e32 v9, vcc, 0, v9, vcc
	v_cmp_gt_i32_e32 vcc, 31, v7
	v_cndmask_b32_e32 v9, v6, v9, vcc
	v_cmp_ne_u32_e32 vcc, 0, v4
	v_cndmask_b32_e64 v4, 0, 1, vcc
	v_lshl_or_b32 v4, v4, 9, v6
	v_cmp_eq_u32_e32 vcc, s16, v7
	v_and_or_b32 v0, v1, s18, v0
	v_cndmask_b32_e32 v4, v9, v4, vcc
	v_lshrrev_b32_e32 v5, 16, v5
	v_cmp_ne_u32_e32 vcc, 0, v0
	v_and_or_b32 v4, v5, s10, v4
	v_cndmask_b32_e64 v0, 0, 1, vcc
	v_lshrrev_b32_e32 v5, 8, v1
	v_bfe_u32 v7, v1, 20, 11
	v_and_or_b32 v0, v5, s17, v0
	v_sub_u32_e32 v9, 0x3f1, v7
	v_or_b32_e32 v5, 0x1000, v0
	v_med3_i32 v9, v9, 0, 13
	v_lshrrev_b32_e32 v10, v9, v5
	v_lshlrev_b32_e32 v9, v9, v10
	v_cmp_ne_u32_e32 vcc, v9, v5
	v_cndmask_b32_e64 v5, 0, 1, vcc
	v_add_u32_e32 v7, 0xfffffc10, v7
	v_or_b32_e32 v5, v10, v5
	v_lshl_or_b32 v9, v7, 12, v0
	v_cmp_gt_i32_e32 vcc, 1, v7
	v_cndmask_b32_e32 v5, v9, v5, vcc
	v_and_b32_e32 v9, 7, v5
	v_cmp_lt_i32_e32 vcc, 5, v9
	v_cmp_eq_u32_e64 s[0:1], 3, v9
	v_lshrrev_b32_e32 v5, 2, v5
	s_or_b64 vcc, s[0:1], vcc
	v_addc_co_u32_e32 v5, vcc, 0, v5, vcc
	v_cmp_gt_i32_e32 vcc, 31, v7
	v_cndmask_b32_e32 v5, v6, v5, vcc
	v_cmp_ne_u32_e32 vcc, 0, v0
	v_cndmask_b32_e64 v0, 0, 1, vcc
	v_lshl_or_b32 v0, v0, 9, v6
	v_cmp_eq_u32_e32 vcc, s16, v7
	v_cndmask_b32_e32 v0, v5, v0, vcc
	v_lshrrev_b32_e32 v1, 16, v1
	v_and_or_b32 v0, v1, s10, v0
	v_and_b32_e32 v1, 0xffff, v4
	v_lshl_or_b32 v4, v0, 16, v1
	v_mov_b32_e32 v1, s2
	v_add_co_u32_e32 v0, vcc, s3, v2
	v_addc_co_u32_e32 v1, vcc, v3, v1, vcc
	global_store_dword v[0:1], v4, off
	global_load_dword v7, v27, s[6:7] offset:1728
	ds_read2_b32 v[2:3], v8 offset0:176 offset1:212
	s_waitcnt lgkmcnt(0)
	v_lshrrev_b32_e32 v8, 16, v2
	s_waitcnt vmcnt(0)
	v_mul_f16_sdwa v4, v8, v7 dst_sel:DWORD dst_unused:UNUSED_PAD src0_sel:DWORD src1_sel:WORD_1
	v_fma_f16 v4, v2, v7, v4
	v_cvt_f32_f16_e32 v4, v4
	v_mul_f16_sdwa v2, v2, v7 dst_sel:DWORD dst_unused:UNUSED_PAD src0_sel:DWORD src1_sel:WORD_1
	v_fma_f16 v2, v7, v8, -v2
	v_cvt_f32_f16_e32 v2, v2
	v_cvt_f64_f32_e32 v[4:5], v4
	v_cvt_f64_f32_e32 v[7:8], v2
	v_mul_f64 v[4:5], v[4:5], s[14:15]
	v_mul_f64 v[7:8], v[7:8], s[14:15]
	v_and_or_b32 v4, v5, s18, v4
	v_cmp_ne_u32_e32 vcc, 0, v4
	v_cndmask_b32_e64 v4, 0, 1, vcc
	v_lshrrev_b32_e32 v9, 8, v5
	v_bfe_u32 v10, v5, 20, 11
	v_and_or_b32 v4, v9, s17, v4
	v_sub_u32_e32 v11, 0x3f1, v10
	v_or_b32_e32 v9, 0x1000, v4
	v_med3_i32 v11, v11, 0, 13
	v_lshrrev_b32_e32 v12, v11, v9
	v_lshlrev_b32_e32 v11, v11, v12
	v_cmp_ne_u32_e32 vcc, v11, v9
	v_cndmask_b32_e64 v9, 0, 1, vcc
	v_add_u32_e32 v10, 0xfffffc10, v10
	v_or_b32_e32 v9, v12, v9
	v_lshl_or_b32 v11, v10, 12, v4
	v_cmp_gt_i32_e32 vcc, 1, v10
	v_cndmask_b32_e32 v9, v11, v9, vcc
	v_and_b32_e32 v11, 7, v9
	v_cmp_lt_i32_e32 vcc, 5, v11
	v_cmp_eq_u32_e64 s[0:1], 3, v11
	v_lshrrev_b32_e32 v9, 2, v9
	s_or_b64 vcc, s[0:1], vcc
	v_addc_co_u32_e32 v2, vcc, 0, v9, vcc
	v_cmp_gt_i32_e32 vcc, 31, v10
	v_cndmask_b32_e32 v2, v6, v2, vcc
	v_cmp_ne_u32_e32 vcc, 0, v4
	v_cndmask_b32_e64 v4, 0, 1, vcc
	v_lshl_or_b32 v4, v4, 9, v6
	v_cmp_eq_u32_e32 vcc, s16, v10
	v_cndmask_b32_e32 v2, v2, v4, vcc
	v_lshrrev_b32_e32 v4, 16, v5
	v_and_or_b32 v2, v4, s10, v2
	v_and_or_b32 v4, v8, s18, v7
	v_cmp_ne_u32_e32 vcc, 0, v4
	v_cndmask_b32_e64 v4, 0, 1, vcc
	v_lshrrev_b32_e32 v5, 8, v8
	v_bfe_u32 v7, v8, 20, 11
	v_and_or_b32 v4, v5, s17, v4
	v_sub_u32_e32 v9, 0x3f1, v7
	v_or_b32_e32 v5, 0x1000, v4
	v_med3_i32 v9, v9, 0, 13
	v_lshrrev_b32_e32 v10, v9, v5
	v_lshlrev_b32_e32 v9, v9, v10
	v_cmp_ne_u32_e32 vcc, v9, v5
	v_cndmask_b32_e64 v5, 0, 1, vcc
	v_add_u32_e32 v7, 0xfffffc10, v7
	v_or_b32_e32 v5, v10, v5
	v_lshl_or_b32 v9, v7, 12, v4
	v_cmp_gt_i32_e32 vcc, 1, v7
	v_cndmask_b32_e32 v5, v9, v5, vcc
	v_and_b32_e32 v9, 7, v5
	v_cmp_lt_i32_e32 vcc, 5, v9
	v_cmp_eq_u32_e64 s[0:1], 3, v9
	v_lshrrev_b32_e32 v5, 2, v5
	s_or_b64 vcc, s[0:1], vcc
	v_addc_co_u32_e32 v5, vcc, 0, v5, vcc
	v_cmp_gt_i32_e32 vcc, 31, v7
	v_cndmask_b32_e32 v5, v6, v5, vcc
	v_cmp_ne_u32_e32 vcc, 0, v4
	v_cndmask_b32_e64 v4, 0, 1, vcc
	v_lshl_or_b32 v4, v4, 9, v6
	v_cmp_eq_u32_e32 vcc, s16, v7
	v_cndmask_b32_e32 v4, v5, v4, vcc
	v_lshrrev_b32_e32 v5, 16, v8
	v_and_or_b32 v4, v5, s10, v4
	v_and_b32_e32 v2, 0xffff, v2
	v_lshl_or_b32 v2, v4, 16, v2
	v_mov_b32_e32 v4, s2
	v_add_co_u32_e32 v0, vcc, s3, v0
	v_addc_co_u32_e32 v1, vcc, v1, v4, vcc
	global_store_dword v[0:1], v2, off
	global_load_dword v2, v27, s[6:7] offset:1872
	v_lshrrev_b32_e32 v7, 16, v3
	s_waitcnt vmcnt(0)
	v_mul_f16_sdwa v4, v7, v2 dst_sel:DWORD dst_unused:UNUSED_PAD src0_sel:DWORD src1_sel:WORD_1
	v_fma_f16 v4, v3, v2, v4
	v_cvt_f32_f16_e32 v4, v4
	v_mul_f16_sdwa v3, v3, v2 dst_sel:DWORD dst_unused:UNUSED_PAD src0_sel:DWORD src1_sel:WORD_1
	v_fma_f16 v2, v2, v7, -v3
	v_cvt_f32_f16_e32 v2, v2
	v_cvt_f64_f32_e32 v[4:5], v4
	v_cvt_f64_f32_e32 v[2:3], v2
	v_mul_f64 v[4:5], v[4:5], s[14:15]
	v_mul_f64 v[2:3], v[2:3], s[14:15]
	v_and_or_b32 v4, v5, s18, v4
	v_cmp_ne_u32_e32 vcc, 0, v4
	v_cndmask_b32_e64 v4, 0, 1, vcc
	v_lshrrev_b32_e32 v8, 8, v5
	v_bfe_u32 v9, v5, 20, 11
	v_and_or_b32 v4, v8, s17, v4
	v_sub_u32_e32 v10, 0x3f1, v9
	v_or_b32_e32 v8, 0x1000, v4
	v_med3_i32 v10, v10, 0, 13
	v_lshrrev_b32_e32 v11, v10, v8
	v_lshlrev_b32_e32 v10, v10, v11
	v_cmp_ne_u32_e32 vcc, v10, v8
	v_cndmask_b32_e64 v8, 0, 1, vcc
	v_add_u32_e32 v9, 0xfffffc10, v9
	v_or_b32_e32 v8, v11, v8
	v_lshl_or_b32 v10, v9, 12, v4
	v_cmp_gt_i32_e32 vcc, 1, v9
	v_cndmask_b32_e32 v8, v10, v8, vcc
	v_and_b32_e32 v10, 7, v8
	v_cmp_lt_i32_e32 vcc, 5, v10
	v_cmp_eq_u32_e64 s[0:1], 3, v10
	v_lshrrev_b32_e32 v7, 2, v8
	s_or_b64 vcc, s[0:1], vcc
	v_addc_co_u32_e32 v7, vcc, 0, v7, vcc
	v_cmp_gt_i32_e32 vcc, 31, v9
	v_cndmask_b32_e32 v7, v6, v7, vcc
	v_cmp_ne_u32_e32 vcc, 0, v4
	v_cndmask_b32_e64 v4, 0, 1, vcc
	v_lshl_or_b32 v4, v4, 9, v6
	v_cmp_eq_u32_e32 vcc, s16, v9
	v_and_or_b32 v2, v3, s18, v2
	v_cndmask_b32_e32 v4, v7, v4, vcc
	v_lshrrev_b32_e32 v5, 16, v5
	v_cmp_ne_u32_e32 vcc, 0, v2
	v_and_or_b32 v4, v5, s10, v4
	v_cndmask_b32_e64 v2, 0, 1, vcc
	v_lshrrev_b32_e32 v5, 8, v3
	v_bfe_u32 v7, v3, 20, 11
	v_and_or_b32 v2, v5, s17, v2
	v_sub_u32_e32 v8, 0x3f1, v7
	v_or_b32_e32 v5, 0x1000, v2
	v_med3_i32 v8, v8, 0, 13
	v_lshrrev_b32_e32 v9, v8, v5
	v_lshlrev_b32_e32 v8, v8, v9
	v_cmp_ne_u32_e32 vcc, v8, v5
	v_cndmask_b32_e64 v5, 0, 1, vcc
	v_add_u32_e32 v7, 0xfffffc10, v7
	v_or_b32_e32 v5, v9, v5
	v_lshl_or_b32 v8, v7, 12, v2
	v_cmp_gt_i32_e32 vcc, 1, v7
	v_cndmask_b32_e32 v5, v8, v5, vcc
	v_and_b32_e32 v8, 7, v5
	v_cmp_lt_i32_e32 vcc, 5, v8
	v_cmp_eq_u32_e64 s[0:1], 3, v8
	v_lshrrev_b32_e32 v5, 2, v5
	s_or_b64 vcc, s[0:1], vcc
	v_addc_co_u32_e32 v5, vcc, 0, v5, vcc
	v_cmp_gt_i32_e32 vcc, 31, v7
	v_cndmask_b32_e32 v5, v6, v5, vcc
	v_cmp_ne_u32_e32 vcc, 0, v2
	v_cndmask_b32_e64 v2, 0, 1, vcc
	v_lshl_or_b32 v2, v2, 9, v6
	v_cmp_eq_u32_e32 vcc, s16, v7
	v_cndmask_b32_e32 v2, v5, v2, vcc
	v_lshrrev_b32_e32 v3, 16, v3
	v_and_or_b32 v2, v3, s10, v2
	v_and_b32_e32 v3, 0xffff, v4
	v_lshl_or_b32 v2, v2, 16, v3
	v_mov_b32_e32 v3, s2
	v_add_co_u32_e32 v0, vcc, s3, v0
	v_addc_co_u32_e32 v1, vcc, v1, v3, vcc
	global_store_dword v[0:1], v2, off
	global_load_dword v7, v27, s[6:7] offset:2016
	v_add_u32_e32 v2, 0x600, v27
	ds_read2_b32 v[2:3], v2 offset0:120 offset1:156
	s_waitcnt lgkmcnt(0)
	v_lshrrev_b32_e32 v8, 16, v2
	s_waitcnt vmcnt(0)
	v_mul_f16_sdwa v4, v8, v7 dst_sel:DWORD dst_unused:UNUSED_PAD src0_sel:DWORD src1_sel:WORD_1
	v_fma_f16 v4, v2, v7, v4
	v_cvt_f32_f16_e32 v4, v4
	v_mul_f16_sdwa v2, v2, v7 dst_sel:DWORD dst_unused:UNUSED_PAD src0_sel:DWORD src1_sel:WORD_1
	v_fma_f16 v2, v7, v8, -v2
	v_cvt_f32_f16_e32 v2, v2
	v_cvt_f64_f32_e32 v[4:5], v4
	v_cvt_f64_f32_e32 v[7:8], v2
	v_mul_f64 v[4:5], v[4:5], s[14:15]
	v_mul_f64 v[7:8], v[7:8], s[14:15]
	v_and_or_b32 v4, v5, s18, v4
	v_cmp_ne_u32_e32 vcc, 0, v4
	v_cndmask_b32_e64 v4, 0, 1, vcc
	v_lshrrev_b32_e32 v9, 8, v5
	v_bfe_u32 v10, v5, 20, 11
	v_and_or_b32 v4, v9, s17, v4
	v_sub_u32_e32 v11, 0x3f1, v10
	v_or_b32_e32 v9, 0x1000, v4
	v_med3_i32 v11, v11, 0, 13
	v_lshrrev_b32_e32 v12, v11, v9
	v_lshlrev_b32_e32 v11, v11, v12
	v_cmp_ne_u32_e32 vcc, v11, v9
	v_cndmask_b32_e64 v9, 0, 1, vcc
	v_add_u32_e32 v10, 0xfffffc10, v10
	v_or_b32_e32 v9, v12, v9
	v_lshl_or_b32 v11, v10, 12, v4
	v_cmp_gt_i32_e32 vcc, 1, v10
	v_cndmask_b32_e32 v9, v11, v9, vcc
	v_and_b32_e32 v11, 7, v9
	v_cmp_lt_i32_e32 vcc, 5, v11
	v_cmp_eq_u32_e64 s[0:1], 3, v11
	v_lshrrev_b32_e32 v9, 2, v9
	s_or_b64 vcc, s[0:1], vcc
	v_addc_co_u32_e32 v2, vcc, 0, v9, vcc
	v_cmp_gt_i32_e32 vcc, 31, v10
	v_cndmask_b32_e32 v2, v6, v2, vcc
	v_cmp_ne_u32_e32 vcc, 0, v4
	v_cndmask_b32_e64 v4, 0, 1, vcc
	v_lshl_or_b32 v4, v4, 9, v6
	v_cmp_eq_u32_e32 vcc, s16, v10
	v_cndmask_b32_e32 v2, v2, v4, vcc
	v_lshrrev_b32_e32 v4, 16, v5
	v_and_or_b32 v2, v4, s10, v2
	v_and_or_b32 v4, v8, s18, v7
	v_cmp_ne_u32_e32 vcc, 0, v4
	v_cndmask_b32_e64 v4, 0, 1, vcc
	v_lshrrev_b32_e32 v5, 8, v8
	v_bfe_u32 v7, v8, 20, 11
	v_and_or_b32 v4, v5, s17, v4
	v_sub_u32_e32 v9, 0x3f1, v7
	v_or_b32_e32 v5, 0x1000, v4
	v_med3_i32 v9, v9, 0, 13
	v_lshrrev_b32_e32 v10, v9, v5
	v_lshlrev_b32_e32 v9, v9, v10
	v_cmp_ne_u32_e32 vcc, v9, v5
	v_cndmask_b32_e64 v5, 0, 1, vcc
	v_add_u32_e32 v7, 0xfffffc10, v7
	v_or_b32_e32 v5, v10, v5
	v_lshl_or_b32 v9, v7, 12, v4
	v_cmp_gt_i32_e32 vcc, 1, v7
	v_cndmask_b32_e32 v5, v9, v5, vcc
	v_and_b32_e32 v9, 7, v5
	v_cmp_lt_i32_e32 vcc, 5, v9
	v_cmp_eq_u32_e64 s[0:1], 3, v9
	v_lshrrev_b32_e32 v5, 2, v5
	s_or_b64 vcc, s[0:1], vcc
	v_addc_co_u32_e32 v5, vcc, 0, v5, vcc
	v_cmp_gt_i32_e32 vcc, 31, v7
	v_cndmask_b32_e32 v5, v6, v5, vcc
	v_cmp_ne_u32_e32 vcc, 0, v4
	v_cndmask_b32_e64 v4, 0, 1, vcc
	v_lshl_or_b32 v4, v4, 9, v6
	v_cmp_eq_u32_e32 vcc, s16, v7
	v_cndmask_b32_e32 v4, v5, v4, vcc
	v_lshrrev_b32_e32 v5, 16, v8
	v_and_or_b32 v4, v5, s10, v4
	v_and_b32_e32 v2, 0xffff, v2
	v_lshl_or_b32 v2, v4, 16, v2
	v_mov_b32_e32 v4, s2
	v_add_co_u32_e32 v0, vcc, s3, v0
	v_addc_co_u32_e32 v1, vcc, v1, v4, vcc
	global_store_dword v[0:1], v2, off
	global_load_dword v2, v27, s[6:7] offset:2160
	v_lshrrev_b32_e32 v7, 16, v3
	s_waitcnt vmcnt(0)
	v_mul_f16_sdwa v4, v7, v2 dst_sel:DWORD dst_unused:UNUSED_PAD src0_sel:DWORD src1_sel:WORD_1
	v_fma_f16 v4, v3, v2, v4
	v_cvt_f32_f16_e32 v4, v4
	v_mul_f16_sdwa v3, v3, v2 dst_sel:DWORD dst_unused:UNUSED_PAD src0_sel:DWORD src1_sel:WORD_1
	v_fma_f16 v2, v2, v7, -v3
	v_cvt_f32_f16_e32 v2, v2
	v_cvt_f64_f32_e32 v[4:5], v4
	v_cvt_f64_f32_e32 v[2:3], v2
	v_mul_f64 v[4:5], v[4:5], s[14:15]
	v_mul_f64 v[2:3], v[2:3], s[14:15]
	v_and_or_b32 v4, v5, s18, v4
	v_cmp_ne_u32_e32 vcc, 0, v4
	v_cndmask_b32_e64 v4, 0, 1, vcc
	v_lshrrev_b32_e32 v8, 8, v5
	v_bfe_u32 v9, v5, 20, 11
	v_and_or_b32 v4, v8, s17, v4
	v_sub_u32_e32 v10, 0x3f1, v9
	v_or_b32_e32 v8, 0x1000, v4
	v_med3_i32 v10, v10, 0, 13
	v_lshrrev_b32_e32 v11, v10, v8
	v_lshlrev_b32_e32 v10, v10, v11
	v_cmp_ne_u32_e32 vcc, v10, v8
	v_cndmask_b32_e64 v8, 0, 1, vcc
	v_add_u32_e32 v9, 0xfffffc10, v9
	v_or_b32_e32 v8, v11, v8
	v_lshl_or_b32 v10, v9, 12, v4
	v_cmp_gt_i32_e32 vcc, 1, v9
	v_cndmask_b32_e32 v8, v10, v8, vcc
	v_and_b32_e32 v10, 7, v8
	v_cmp_lt_i32_e32 vcc, 5, v10
	v_cmp_eq_u32_e64 s[0:1], 3, v10
	v_lshrrev_b32_e32 v7, 2, v8
	s_or_b64 vcc, s[0:1], vcc
	v_addc_co_u32_e32 v7, vcc, 0, v7, vcc
	v_cmp_gt_i32_e32 vcc, 31, v9
	v_cndmask_b32_e32 v7, v6, v7, vcc
	v_cmp_ne_u32_e32 vcc, 0, v4
	v_cndmask_b32_e64 v4, 0, 1, vcc
	v_lshl_or_b32 v4, v4, 9, v6
	v_cmp_eq_u32_e32 vcc, s16, v9
	v_and_or_b32 v2, v3, s18, v2
	v_cndmask_b32_e32 v4, v7, v4, vcc
	v_lshrrev_b32_e32 v5, 16, v5
	v_cmp_ne_u32_e32 vcc, 0, v2
	v_and_or_b32 v4, v5, s10, v4
	v_cndmask_b32_e64 v2, 0, 1, vcc
	v_lshrrev_b32_e32 v5, 8, v3
	v_bfe_u32 v7, v3, 20, 11
	v_and_or_b32 v2, v5, s17, v2
	v_sub_u32_e32 v8, 0x3f1, v7
	v_or_b32_e32 v5, 0x1000, v2
	v_med3_i32 v8, v8, 0, 13
	v_lshrrev_b32_e32 v9, v8, v5
	v_lshlrev_b32_e32 v8, v8, v9
	v_cmp_ne_u32_e32 vcc, v8, v5
	v_cndmask_b32_e64 v5, 0, 1, vcc
	v_add_u32_e32 v7, 0xfffffc10, v7
	v_or_b32_e32 v5, v9, v5
	v_lshl_or_b32 v8, v7, 12, v2
	v_cmp_gt_i32_e32 vcc, 1, v7
	v_cndmask_b32_e32 v5, v8, v5, vcc
	v_and_b32_e32 v8, 7, v5
	v_cmp_lt_i32_e32 vcc, 5, v8
	v_cmp_eq_u32_e64 s[0:1], 3, v8
	v_lshrrev_b32_e32 v5, 2, v5
	s_or_b64 vcc, s[0:1], vcc
	v_addc_co_u32_e32 v5, vcc, 0, v5, vcc
	v_cmp_gt_i32_e32 vcc, 31, v7
	v_cndmask_b32_e32 v5, v6, v5, vcc
	v_cmp_ne_u32_e32 vcc, 0, v2
	v_cndmask_b32_e64 v2, 0, 1, vcc
	v_lshl_or_b32 v2, v2, 9, v6
	v_cmp_eq_u32_e32 vcc, s16, v7
	v_cndmask_b32_e32 v2, v5, v2, vcc
	v_lshrrev_b32_e32 v3, 16, v3
	v_and_or_b32 v2, v3, s10, v2
	v_and_b32_e32 v3, 0xffff, v4
	v_lshl_or_b32 v2, v2, 16, v3
	v_mov_b32_e32 v3, s2
	v_add_co_u32_e32 v0, vcc, s3, v0
	v_addc_co_u32_e32 v1, vcc, v1, v3, vcc
	global_store_dword v[0:1], v2, off
.LBB0_15:
	s_endpgm
	.section	.rodata,"a",@progbits
	.p2align	6, 0x0
	.amdhsa_kernel bluestein_single_fwd_len576_dim1_half_op_CI_CI
		.amdhsa_group_segment_fixed_size 2304
		.amdhsa_private_segment_fixed_size 0
		.amdhsa_kernarg_size 104
		.amdhsa_user_sgpr_count 6
		.amdhsa_user_sgpr_private_segment_buffer 1
		.amdhsa_user_sgpr_dispatch_ptr 0
		.amdhsa_user_sgpr_queue_ptr 0
		.amdhsa_user_sgpr_kernarg_segment_ptr 1
		.amdhsa_user_sgpr_dispatch_id 0
		.amdhsa_user_sgpr_flat_scratch_init 0
		.amdhsa_user_sgpr_private_segment_size 0
		.amdhsa_uses_dynamic_stack 0
		.amdhsa_system_sgpr_private_segment_wavefront_offset 0
		.amdhsa_system_sgpr_workgroup_id_x 1
		.amdhsa_system_sgpr_workgroup_id_y 0
		.amdhsa_system_sgpr_workgroup_id_z 0
		.amdhsa_system_sgpr_workgroup_info 0
		.amdhsa_system_vgpr_workitem_id 0
		.amdhsa_next_free_vgpr 63
		.amdhsa_next_free_sgpr 20
		.amdhsa_reserve_vcc 1
		.amdhsa_reserve_flat_scratch 0
		.amdhsa_float_round_mode_32 0
		.amdhsa_float_round_mode_16_64 0
		.amdhsa_float_denorm_mode_32 3
		.amdhsa_float_denorm_mode_16_64 3
		.amdhsa_dx10_clamp 1
		.amdhsa_ieee_mode 1
		.amdhsa_fp16_overflow 0
		.amdhsa_exception_fp_ieee_invalid_op 0
		.amdhsa_exception_fp_denorm_src 0
		.amdhsa_exception_fp_ieee_div_zero 0
		.amdhsa_exception_fp_ieee_overflow 0
		.amdhsa_exception_fp_ieee_underflow 0
		.amdhsa_exception_fp_ieee_inexact 0
		.amdhsa_exception_int_div_zero 0
	.end_amdhsa_kernel
	.text
.Lfunc_end0:
	.size	bluestein_single_fwd_len576_dim1_half_op_CI_CI, .Lfunc_end0-bluestein_single_fwd_len576_dim1_half_op_CI_CI
                                        ; -- End function
	.section	.AMDGPU.csdata,"",@progbits
; Kernel info:
; codeLenInByte = 16024
; NumSgprs: 24
; NumVgprs: 63
; ScratchSize: 0
; MemoryBound: 0
; FloatMode: 240
; IeeeMode: 1
; LDSByteSize: 2304 bytes/workgroup (compile time only)
; SGPRBlocks: 2
; VGPRBlocks: 15
; NumSGPRsForWavesPerEU: 24
; NumVGPRsForWavesPerEU: 63
; Occupancy: 4
; WaveLimiterHint : 1
; COMPUTE_PGM_RSRC2:SCRATCH_EN: 0
; COMPUTE_PGM_RSRC2:USER_SGPR: 6
; COMPUTE_PGM_RSRC2:TRAP_HANDLER: 0
; COMPUTE_PGM_RSRC2:TGID_X_EN: 1
; COMPUTE_PGM_RSRC2:TGID_Y_EN: 0
; COMPUTE_PGM_RSRC2:TGID_Z_EN: 0
; COMPUTE_PGM_RSRC2:TIDIG_COMP_CNT: 0
	.type	__hip_cuid_7fb79a3f913ea1ed,@object ; @__hip_cuid_7fb79a3f913ea1ed
	.section	.bss,"aw",@nobits
	.globl	__hip_cuid_7fb79a3f913ea1ed
__hip_cuid_7fb79a3f913ea1ed:
	.byte	0                               ; 0x0
	.size	__hip_cuid_7fb79a3f913ea1ed, 1

	.ident	"AMD clang version 19.0.0git (https://github.com/RadeonOpenCompute/llvm-project roc-6.4.0 25133 c7fe45cf4b819c5991fe208aaa96edf142730f1d)"
	.section	".note.GNU-stack","",@progbits
	.addrsig
	.addrsig_sym __hip_cuid_7fb79a3f913ea1ed
	.amdgpu_metadata
---
amdhsa.kernels:
  - .args:
      - .actual_access:  read_only
        .address_space:  global
        .offset:         0
        .size:           8
        .value_kind:     global_buffer
      - .actual_access:  read_only
        .address_space:  global
        .offset:         8
        .size:           8
        .value_kind:     global_buffer
      - .actual_access:  read_only
        .address_space:  global
        .offset:         16
        .size:           8
        .value_kind:     global_buffer
      - .actual_access:  read_only
        .address_space:  global
        .offset:         24
        .size:           8
        .value_kind:     global_buffer
      - .actual_access:  read_only
        .address_space:  global
        .offset:         32
        .size:           8
        .value_kind:     global_buffer
      - .offset:         40
        .size:           8
        .value_kind:     by_value
      - .address_space:  global
        .offset:         48
        .size:           8
        .value_kind:     global_buffer
      - .address_space:  global
        .offset:         56
        .size:           8
        .value_kind:     global_buffer
      - .address_space:  global
        .offset:         64
        .size:           8
        .value_kind:     global_buffer
      - .address_space:  global
        .offset:         72
        .size:           8
        .value_kind:     global_buffer
      - .offset:         80
        .size:           4
        .value_kind:     by_value
      - .address_space:  global
        .offset:         88
        .size:           8
        .value_kind:     global_buffer
      - .address_space:  global
        .offset:         96
        .size:           8
        .value_kind:     global_buffer
    .group_segment_fixed_size: 2304
    .kernarg_segment_align: 8
    .kernarg_segment_size: 104
    .language:       OpenCL C
    .language_version:
      - 2
      - 0
    .max_flat_workgroup_size: 96
    .name:           bluestein_single_fwd_len576_dim1_half_op_CI_CI
    .private_segment_fixed_size: 0
    .sgpr_count:     24
    .sgpr_spill_count: 0
    .symbol:         bluestein_single_fwd_len576_dim1_half_op_CI_CI.kd
    .uniform_work_group_size: 1
    .uses_dynamic_stack: false
    .vgpr_count:     63
    .vgpr_spill_count: 0
    .wavefront_size: 64
amdhsa.target:   amdgcn-amd-amdhsa--gfx906
amdhsa.version:
  - 1
  - 2
...

	.end_amdgpu_metadata
